;; amdgpu-corpus repo=ROCm/rocFFT kind=compiled arch=gfx1201 opt=O3
	.text
	.amdgcn_target "amdgcn-amd-amdhsa--gfx1201"
	.amdhsa_code_object_version 6
	.protected	fft_rtc_back_len238_factors_17_7_2_wgs_51_tpt_17_halfLds_dp_ip_CI_unitstride_sbrr_R2C_dirReg ; -- Begin function fft_rtc_back_len238_factors_17_7_2_wgs_51_tpt_17_halfLds_dp_ip_CI_unitstride_sbrr_R2C_dirReg
	.globl	fft_rtc_back_len238_factors_17_7_2_wgs_51_tpt_17_halfLds_dp_ip_CI_unitstride_sbrr_R2C_dirReg
	.p2align	8
	.type	fft_rtc_back_len238_factors_17_7_2_wgs_51_tpt_17_halfLds_dp_ip_CI_unitstride_sbrr_R2C_dirReg,@function
fft_rtc_back_len238_factors_17_7_2_wgs_51_tpt_17_halfLds_dp_ip_CI_unitstride_sbrr_R2C_dirReg: ; @fft_rtc_back_len238_factors_17_7_2_wgs_51_tpt_17_halfLds_dp_ip_CI_unitstride_sbrr_R2C_dirReg
; %bb.0:
	s_load_b128 s[4:7], s[0:1], 0x0
	v_mul_u32_u24_e32 v1, 0xf10, v0
	s_clause 0x1
	s_load_b64 s[8:9], s[0:1], 0x50
	s_load_b64 s[10:11], s[0:1], 0x18
	v_mov_b32_e32 v5, 0
	v_lshrrev_b32_e32 v1, 16, v1
	s_delay_alu instid0(VALU_DEP_1) | instskip(SKIP_3) | instid1(VALU_DEP_1)
	v_mad_co_u64_u32 v[1:2], null, ttmp9, 3, v[1:2]
	v_mov_b32_e32 v3, 0
	v_mov_b32_e32 v4, 0
	;; [unrolled: 1-line block ×4, first 2 shown]
	s_wait_kmcnt 0x0
	v_cmp_lt_u64_e64 s2, s[6:7], 2
	v_mov_b32_e32 v9, v1
	s_delay_alu instid0(VALU_DEP_2)
	s_and_b32 vcc_lo, exec_lo, s2
	s_cbranch_vccnz .LBB0_8
; %bb.1:
	s_load_b64 s[2:3], s[0:1], 0x10
	v_dual_mov_b32 v3, 0 :: v_dual_mov_b32 v8, v2
	v_dual_mov_b32 v4, 0 :: v_dual_mov_b32 v7, v1
	s_add_nc_u64 s[12:13], s[10:11], 8
	s_mov_b64 s[14:15], 1
	s_wait_kmcnt 0x0
	s_add_nc_u64 s[16:17], s[2:3], 8
	s_mov_b32 s3, 0
.LBB0_2:                                ; =>This Inner Loop Header: Depth=1
	s_load_b64 s[18:19], s[16:17], 0x0
                                        ; implicit-def: $vgpr9_vgpr10
	s_mov_b32 s2, exec_lo
	s_wait_kmcnt 0x0
	v_or_b32_e32 v6, s19, v8
	s_delay_alu instid0(VALU_DEP_1)
	v_cmpx_ne_u64_e32 0, v[5:6]
	s_wait_alu 0xfffe
	s_xor_b32 s20, exec_lo, s2
	s_cbranch_execz .LBB0_4
; %bb.3:                                ;   in Loop: Header=BB0_2 Depth=1
	s_cvt_f32_u32 s2, s18
	s_cvt_f32_u32 s21, s19
	s_sub_nc_u64 s[24:25], 0, s[18:19]
	s_wait_alu 0xfffe
	s_delay_alu instid0(SALU_CYCLE_1) | instskip(SKIP_1) | instid1(SALU_CYCLE_2)
	s_fmamk_f32 s2, s21, 0x4f800000, s2
	s_wait_alu 0xfffe
	v_s_rcp_f32 s2, s2
	s_delay_alu instid0(TRANS32_DEP_1) | instskip(SKIP_1) | instid1(SALU_CYCLE_2)
	s_mul_f32 s2, s2, 0x5f7ffffc
	s_wait_alu 0xfffe
	s_mul_f32 s21, s2, 0x2f800000
	s_wait_alu 0xfffe
	s_delay_alu instid0(SALU_CYCLE_2) | instskip(SKIP_1) | instid1(SALU_CYCLE_2)
	s_trunc_f32 s21, s21
	s_wait_alu 0xfffe
	s_fmamk_f32 s2, s21, 0xcf800000, s2
	s_cvt_u32_f32 s23, s21
	s_wait_alu 0xfffe
	s_delay_alu instid0(SALU_CYCLE_1) | instskip(SKIP_1) | instid1(SALU_CYCLE_2)
	s_cvt_u32_f32 s22, s2
	s_wait_alu 0xfffe
	s_mul_u64 s[26:27], s[24:25], s[22:23]
	s_wait_alu 0xfffe
	s_mul_hi_u32 s29, s22, s27
	s_mul_i32 s28, s22, s27
	s_mul_hi_u32 s2, s22, s26
	s_mul_i32 s30, s23, s26
	s_wait_alu 0xfffe
	s_add_nc_u64 s[28:29], s[2:3], s[28:29]
	s_mul_hi_u32 s21, s23, s26
	s_mul_hi_u32 s31, s23, s27
	s_add_co_u32 s2, s28, s30
	s_wait_alu 0xfffe
	s_add_co_ci_u32 s2, s29, s21
	s_mul_i32 s26, s23, s27
	s_add_co_ci_u32 s27, s31, 0
	s_wait_alu 0xfffe
	s_add_nc_u64 s[26:27], s[2:3], s[26:27]
	s_wait_alu 0xfffe
	v_add_co_u32 v2, s2, s22, s26
	s_delay_alu instid0(VALU_DEP_1) | instskip(SKIP_1) | instid1(VALU_DEP_1)
	s_cmp_lg_u32 s2, 0
	s_add_co_ci_u32 s23, s23, s27
	v_readfirstlane_b32 s22, v2
	s_wait_alu 0xfffe
	s_delay_alu instid0(VALU_DEP_1)
	s_mul_u64 s[24:25], s[24:25], s[22:23]
	s_wait_alu 0xfffe
	s_mul_hi_u32 s27, s22, s25
	s_mul_i32 s26, s22, s25
	s_mul_hi_u32 s2, s22, s24
	s_mul_i32 s28, s23, s24
	s_wait_alu 0xfffe
	s_add_nc_u64 s[26:27], s[2:3], s[26:27]
	s_mul_hi_u32 s21, s23, s24
	s_mul_hi_u32 s22, s23, s25
	s_wait_alu 0xfffe
	s_add_co_u32 s2, s26, s28
	s_add_co_ci_u32 s2, s27, s21
	s_mul_i32 s24, s23, s25
	s_add_co_ci_u32 s25, s22, 0
	s_wait_alu 0xfffe
	s_add_nc_u64 s[24:25], s[2:3], s[24:25]
	s_wait_alu 0xfffe
	v_add_co_u32 v2, s2, v2, s24
	s_delay_alu instid0(VALU_DEP_1) | instskip(SKIP_1) | instid1(VALU_DEP_1)
	s_cmp_lg_u32 s2, 0
	s_add_co_ci_u32 s2, s23, s25
	v_mul_hi_u32 v6, v7, v2
	s_wait_alu 0xfffe
	v_mad_co_u64_u32 v[9:10], null, v7, s2, 0
	v_mad_co_u64_u32 v[11:12], null, v8, v2, 0
	;; [unrolled: 1-line block ×3, first 2 shown]
	s_delay_alu instid0(VALU_DEP_3) | instskip(SKIP_1) | instid1(VALU_DEP_4)
	v_add_co_u32 v2, vcc_lo, v6, v9
	s_wait_alu 0xfffd
	v_add_co_ci_u32_e32 v6, vcc_lo, 0, v10, vcc_lo
	s_delay_alu instid0(VALU_DEP_2) | instskip(SKIP_1) | instid1(VALU_DEP_2)
	v_add_co_u32 v2, vcc_lo, v2, v11
	s_wait_alu 0xfffd
	v_add_co_ci_u32_e32 v2, vcc_lo, v6, v12, vcc_lo
	s_wait_alu 0xfffd
	v_add_co_ci_u32_e32 v6, vcc_lo, 0, v14, vcc_lo
	s_delay_alu instid0(VALU_DEP_2) | instskip(SKIP_1) | instid1(VALU_DEP_2)
	v_add_co_u32 v2, vcc_lo, v2, v13
	s_wait_alu 0xfffd
	v_add_co_ci_u32_e32 v6, vcc_lo, 0, v6, vcc_lo
	s_delay_alu instid0(VALU_DEP_2) | instskip(SKIP_1) | instid1(VALU_DEP_3)
	v_mul_lo_u32 v11, s19, v2
	v_mad_co_u64_u32 v[9:10], null, s18, v2, 0
	v_mul_lo_u32 v12, s18, v6
	s_delay_alu instid0(VALU_DEP_2) | instskip(NEXT) | instid1(VALU_DEP_2)
	v_sub_co_u32 v9, vcc_lo, v7, v9
	v_add3_u32 v10, v10, v12, v11
	s_delay_alu instid0(VALU_DEP_1) | instskip(SKIP_1) | instid1(VALU_DEP_1)
	v_sub_nc_u32_e32 v11, v8, v10
	s_wait_alu 0xfffd
	v_subrev_co_ci_u32_e64 v11, s2, s19, v11, vcc_lo
	v_add_co_u32 v12, s2, v2, 2
	s_wait_alu 0xf1ff
	v_add_co_ci_u32_e64 v13, s2, 0, v6, s2
	v_sub_co_u32 v14, s2, v9, s18
	v_sub_co_ci_u32_e32 v10, vcc_lo, v8, v10, vcc_lo
	s_wait_alu 0xf1ff
	v_subrev_co_ci_u32_e64 v11, s2, 0, v11, s2
	s_delay_alu instid0(VALU_DEP_3) | instskip(NEXT) | instid1(VALU_DEP_3)
	v_cmp_le_u32_e32 vcc_lo, s18, v14
	v_cmp_eq_u32_e64 s2, s19, v10
	s_wait_alu 0xfffd
	v_cndmask_b32_e64 v14, 0, -1, vcc_lo
	v_cmp_le_u32_e32 vcc_lo, s19, v11
	s_wait_alu 0xfffd
	v_cndmask_b32_e64 v15, 0, -1, vcc_lo
	v_cmp_le_u32_e32 vcc_lo, s18, v9
	;; [unrolled: 3-line block ×3, first 2 shown]
	s_wait_alu 0xfffd
	v_cndmask_b32_e64 v16, 0, -1, vcc_lo
	v_cmp_eq_u32_e32 vcc_lo, s19, v11
	s_wait_alu 0xf1ff
	s_delay_alu instid0(VALU_DEP_2)
	v_cndmask_b32_e64 v9, v16, v9, s2
	s_wait_alu 0xfffd
	v_cndmask_b32_e32 v11, v15, v14, vcc_lo
	v_add_co_u32 v14, vcc_lo, v2, 1
	s_wait_alu 0xfffd
	v_add_co_ci_u32_e32 v15, vcc_lo, 0, v6, vcc_lo
	s_delay_alu instid0(VALU_DEP_3) | instskip(SKIP_1) | instid1(VALU_DEP_2)
	v_cmp_ne_u32_e32 vcc_lo, 0, v11
	s_wait_alu 0xfffd
	v_dual_cndmask_b32 v10, v15, v13 :: v_dual_cndmask_b32 v11, v14, v12
	v_cmp_ne_u32_e32 vcc_lo, 0, v9
	s_wait_alu 0xfffd
	s_delay_alu instid0(VALU_DEP_2) | instskip(NEXT) | instid1(VALU_DEP_3)
	v_cndmask_b32_e32 v10, v6, v10, vcc_lo
	v_cndmask_b32_e32 v9, v2, v11, vcc_lo
.LBB0_4:                                ;   in Loop: Header=BB0_2 Depth=1
	s_wait_alu 0xfffe
	s_and_not1_saveexec_b32 s2, s20
	s_cbranch_execz .LBB0_6
; %bb.5:                                ;   in Loop: Header=BB0_2 Depth=1
	v_cvt_f32_u32_e32 v2, s18
	s_sub_co_i32 s20, 0, s18
	s_delay_alu instid0(VALU_DEP_1) | instskip(NEXT) | instid1(TRANS32_DEP_1)
	v_rcp_iflag_f32_e32 v2, v2
	v_mul_f32_e32 v2, 0x4f7ffffe, v2
	s_delay_alu instid0(VALU_DEP_1) | instskip(SKIP_1) | instid1(VALU_DEP_1)
	v_cvt_u32_f32_e32 v2, v2
	s_wait_alu 0xfffe
	v_mul_lo_u32 v6, s20, v2
	s_delay_alu instid0(VALU_DEP_1) | instskip(NEXT) | instid1(VALU_DEP_1)
	v_mul_hi_u32 v6, v2, v6
	v_add_nc_u32_e32 v2, v2, v6
	s_delay_alu instid0(VALU_DEP_1) | instskip(NEXT) | instid1(VALU_DEP_1)
	v_mul_hi_u32 v2, v7, v2
	v_mul_lo_u32 v6, v2, s18
	v_add_nc_u32_e32 v9, 1, v2
	s_delay_alu instid0(VALU_DEP_2) | instskip(NEXT) | instid1(VALU_DEP_1)
	v_sub_nc_u32_e32 v6, v7, v6
	v_subrev_nc_u32_e32 v10, s18, v6
	v_cmp_le_u32_e32 vcc_lo, s18, v6
	s_wait_alu 0xfffd
	s_delay_alu instid0(VALU_DEP_2) | instskip(SKIP_2) | instid1(VALU_DEP_3)
	v_cndmask_b32_e32 v6, v6, v10, vcc_lo
	v_mov_b32_e32 v10, v5
	v_cndmask_b32_e32 v2, v2, v9, vcc_lo
	v_cmp_le_u32_e32 vcc_lo, s18, v6
	s_delay_alu instid0(VALU_DEP_2) | instskip(SKIP_1) | instid1(VALU_DEP_1)
	v_add_nc_u32_e32 v9, 1, v2
	s_wait_alu 0xfffd
	v_cndmask_b32_e32 v9, v2, v9, vcc_lo
.LBB0_6:                                ;   in Loop: Header=BB0_2 Depth=1
	s_wait_alu 0xfffe
	s_or_b32 exec_lo, exec_lo, s2
	s_load_b64 s[20:21], s[12:13], 0x0
	v_mul_lo_u32 v2, v10, s18
	v_mul_lo_u32 v6, v9, s19
	v_mad_co_u64_u32 v[11:12], null, v9, s18, 0
	s_add_nc_u64 s[14:15], s[14:15], 1
	s_add_nc_u64 s[12:13], s[12:13], 8
	s_wait_alu 0xfffe
	v_cmp_ge_u64_e64 s2, s[14:15], s[6:7]
	s_add_nc_u64 s[16:17], s[16:17], 8
	s_delay_alu instid0(VALU_DEP_2) | instskip(NEXT) | instid1(VALU_DEP_3)
	v_add3_u32 v2, v12, v6, v2
	v_sub_co_u32 v6, vcc_lo, v7, v11
	s_wait_alu 0xfffd
	s_delay_alu instid0(VALU_DEP_2) | instskip(SKIP_3) | instid1(VALU_DEP_2)
	v_sub_co_ci_u32_e32 v2, vcc_lo, v8, v2, vcc_lo
	s_and_b32 vcc_lo, exec_lo, s2
	s_wait_kmcnt 0x0
	v_mul_lo_u32 v7, s21, v6
	v_mul_lo_u32 v2, s20, v2
	v_mad_co_u64_u32 v[3:4], null, s20, v6, v[3:4]
	s_delay_alu instid0(VALU_DEP_1)
	v_add3_u32 v4, v7, v4, v2
	s_wait_alu 0xfffe
	s_cbranch_vccnz .LBB0_8
; %bb.7:                                ;   in Loop: Header=BB0_2 Depth=1
	v_dual_mov_b32 v7, v9 :: v_dual_mov_b32 v8, v10
	s_branch .LBB0_2
.LBB0_8:
	s_lshl_b64 s[2:3], s[6:7], 3
	v_mul_hi_u32 v2, 0xaaaaaaab, v1
	s_wait_alu 0xfffe
	s_add_nc_u64 s[2:3], s[10:11], s[2:3]
	s_load_b64 s[0:1], s[0:1], 0x20
	s_load_b64 s[2:3], s[2:3], 0x0
	v_mul_hi_u32 v5, 0xf0f0f10, v0
	s_delay_alu instid0(VALU_DEP_2) | instskip(NEXT) | instid1(VALU_DEP_1)
	v_lshrrev_b32_e32 v2, 1, v2
	v_lshl_add_u32 v6, v2, 1, v2
	s_delay_alu instid0(VALU_DEP_1)
	v_sub_nc_u32_e32 v1, v1, v6
	s_wait_kmcnt 0x0
	v_cmp_gt_u64_e32 vcc_lo, s[0:1], v[9:10]
	v_mul_lo_u32 v7, s2, v10
	v_mul_lo_u32 v8, s3, v9
	v_mad_co_u64_u32 v[2:3], null, s2, v9, v[3:4]
	v_mul_u32_u24_e32 v4, 17, v5
	v_mul_u32_u24_e32 v110, 0xef, v1
	s_delay_alu instid0(VALU_DEP_2) | instskip(NEXT) | instid1(VALU_DEP_4)
	v_sub_nc_u32_e32 v68, v0, v4
	v_add3_u32 v3, v8, v3, v7
	s_delay_alu instid0(VALU_DEP_3) | instskip(NEXT) | instid1(VALU_DEP_3)
	v_lshlrev_b32_e32 v70, 4, v110
	v_lshlrev_b32_e32 v119, 4, v68
	s_delay_alu instid0(VALU_DEP_3)
	v_lshlrev_b64_e32 v[108:109], 4, v[2:3]
	s_and_saveexec_b32 s1, vcc_lo
	s_cbranch_execz .LBB0_10
; %bb.9:
	v_mov_b32_e32 v69, 0
	s_delay_alu instid0(VALU_DEP_2) | instskip(SKIP_2) | instid1(VALU_DEP_3)
	v_add_co_u32 v2, s0, s8, v108
	s_wait_alu 0xf1ff
	v_add_co_ci_u32_e64 v3, s0, s9, v109, s0
	v_lshlrev_b64_e32 v[0:1], 4, v[68:69]
	v_add3_u32 v56, 0, v70, v119
	s_delay_alu instid0(VALU_DEP_2) | instskip(SKIP_1) | instid1(VALU_DEP_3)
	v_add_co_u32 v52, s0, v2, v0
	s_wait_alu 0xf1ff
	v_add_co_ci_u32_e64 v53, s0, v3, v1, s0
	s_clause 0xd
	global_load_b128 v[0:3], v[52:53], off
	global_load_b128 v[4:7], v[52:53], off offset:272
	global_load_b128 v[8:11], v[52:53], off offset:544
	;; [unrolled: 1-line block ×13, first 2 shown]
	s_wait_loadcnt 0xd
	ds_store_b128 v56, v[0:3]
	s_wait_loadcnt 0xc
	ds_store_b128 v56, v[4:7] offset:272
	s_wait_loadcnt 0xb
	ds_store_b128 v56, v[8:11] offset:544
	s_wait_loadcnt 0xa
	ds_store_b128 v56, v[12:15] offset:816
	s_wait_loadcnt 0x9
	ds_store_b128 v56, v[16:19] offset:1088
	s_wait_loadcnt 0x8
	ds_store_b128 v56, v[20:23] offset:1360
	s_wait_loadcnt 0x7
	ds_store_b128 v56, v[24:27] offset:1632
	s_wait_loadcnt 0x6
	ds_store_b128 v56, v[28:31] offset:1904
	s_wait_loadcnt 0x5
	ds_store_b128 v56, v[32:35] offset:2176
	s_wait_loadcnt 0x4
	ds_store_b128 v56, v[36:39] offset:2448
	s_wait_loadcnt 0x3
	ds_store_b128 v56, v[40:43] offset:2720
	s_wait_loadcnt 0x2
	ds_store_b128 v56, v[44:47] offset:2992
	s_wait_loadcnt 0x1
	ds_store_b128 v56, v[48:51] offset:3264
	s_wait_loadcnt 0x0
	ds_store_b128 v56, v[52:55] offset:3536
.LBB0_10:
	s_wait_alu 0xfffe
	s_or_b32 exec_lo, exec_lo, s1
	v_add_nc_u32_e32 v255, 0, v70
	v_add_nc_u32_e32 v111, 0, v119
	global_wb scope:SCOPE_SE
	s_wait_dscnt 0x0
	s_barrier_signal -1
	s_barrier_wait -1
	v_add_nc_u32_e32 v84, v255, v119
	v_add_nc_u32_e32 v87, v111, v70
	global_inv scope:SCOPE_SE
	s_mov_b32 s33, exec_lo
	ds_load_b128 v[0:3], v84
	ds_load_b128 v[8:11], v87 offset:224
	ds_load_b128 v[80:83], v87 offset:448
	;; [unrolled: 1-line block ×16, first 2 shown]
	global_wb scope:SCOPE_SE
	s_wait_dscnt 0x0
	s_barrier_signal -1
	s_barrier_wait -1
	global_inv scope:SCOPE_SE
	v_cmpx_gt_u32_e32 14, v68
	s_cbranch_execz .LBB0_12
; %bb.11:
	v_add_f64_e32 v[72:73], v[2:3], v[10:11]
	v_add_f64_e32 v[74:75], v[0:1], v[8:9]
	v_add_f64_e64 v[16:17], v[64:65], -v[60:61]
	v_add_f64_e64 v[18:19], v[66:67], -v[62:63]
	;; [unrolled: 1-line block ×3, first 2 shown]
	s_mov_b32 s42, 0x923c349f
	s_mov_b32 s43, 0xbfeec746
	;; [unrolled: 1-line block ×14, first 2 shown]
	s_clause 0x1
	scratch_store_b64 off, v[108:109], off
	scratch_store_b32 off, v111, off offset:8
	s_mov_b32 s22, 0xeb564b22
	s_mov_b32 s20, 0x6c9a05f6
	;; [unrolled: 1-line block ×13, first 2 shown]
	s_wait_alu 0xfffe
	s_mov_b32 s38, s22
	s_mov_b32 s24, s36
	;; [unrolled: 1-line block ×3, first 2 shown]
	v_mov_b32_e32 v90, v110
	v_add_f64_e32 v[72:73], v[72:73], v[82:83]
	v_add_f64_e32 v[74:75], v[74:75], v[80:81]
	s_mov_b32 s12, 0x3259b75e
	s_mov_b32 s6, 0x6ed5f1bb
	;; [unrolled: 1-line block ×10, first 2 shown]
	scratch_store_b32 off, v119, off offset:12 ; 4-byte Folded Spill
	v_mul_f64_e32 v[163:164], s[22:23], v[18:19]
	s_mov_b32 s47, 0x3fe9895b
	s_mov_b32 s46, s20
	v_mul_f64_e32 v[161:162], s[22:23], v[16:17]
	s_mov_b32 s49, 0x3feec746
	s_mov_b32 s48, s42
	v_mul_f64_e32 v[165:166], s[40:41], v[16:17]
	v_mul_f64_e32 v[167:168], s[40:41], v[18:19]
	;; [unrolled: 1-line block ×9, first 2 shown]
	v_add_f64_e32 v[72:73], v[72:73], v[26:27]
	v_add_f64_e32 v[74:75], v[74:75], v[24:25]
	s_delay_alu instid0(VALU_DEP_2) | instskip(NEXT) | instid1(VALU_DEP_2)
	v_add_f64_e32 v[72:73], v[72:73], v[34:35]
	v_add_f64_e32 v[74:75], v[74:75], v[32:33]
	s_delay_alu instid0(VALU_DEP_2) | instskip(NEXT) | instid1(VALU_DEP_2)
	v_add_f64_e32 v[72:73], v[72:73], v[42:43]
	v_add_f64_e32 v[74:75], v[74:75], v[40:41]
	s_delay_alu instid0(VALU_DEP_2) | instskip(NEXT) | instid1(VALU_DEP_2)
	v_add_f64_e32 v[72:73], v[72:73], v[50:51]
	v_add_f64_e32 v[74:75], v[74:75], v[48:49]
	s_delay_alu instid0(VALU_DEP_2) | instskip(NEXT) | instid1(VALU_DEP_2)
	v_add_f64_e32 v[72:73], v[72:73], v[58:59]
	v_add_f64_e32 v[74:75], v[74:75], v[56:57]
	s_delay_alu instid0(VALU_DEP_2) | instskip(NEXT) | instid1(VALU_DEP_2)
	v_add_f64_e32 v[76:77], v[72:73], v[66:67]
	v_add_f64_e32 v[78:79], v[74:75], v[64:65]
	;; [unrolled: 1-line block ×5, first 2 shown]
	v_add_f64_e64 v[66:67], v[58:59], -v[54:55]
	v_add_f64_e32 v[56:57], v[48:49], v[44:45]
	v_mov_b32_e32 v73, v70
	v_add_f64_e32 v[76:77], v[76:77], v[62:63]
	v_add_f64_e32 v[78:79], v[78:79], v[60:61]
	;; [unrolled: 1-line block ×3, first 2 shown]
	v_add_f64_e64 v[62:63], v[48:49], -v[44:45]
	v_add_f64_e64 v[58:59], v[50:51], -v[46:47]
	v_add_f64_e32 v[48:49], v[40:41], v[36:37]
	v_mul_f64_e32 v[191:192], s[34:35], v[66:67]
	v_mul_f64_e32 v[219:220], s[40:41], v[66:67]
	;; [unrolled: 1-line block ×3, first 2 shown]
	v_add_f64_e32 v[76:77], v[76:77], v[54:55]
	v_add_f64_e32 v[78:79], v[78:79], v[52:53]
	;; [unrolled: 1-line block ×3, first 2 shown]
	v_add_f64_e64 v[54:55], v[40:41], -v[36:37]
	v_add_f64_e64 v[50:51], v[42:43], -v[38:39]
	v_add_f64_e32 v[40:41], v[32:33], v[28:29]
	v_mul_f64_e32 v[185:186], s[20:21], v[62:63]
	v_mul_f64_e32 v[187:188], s[20:21], v[58:59]
	;; [unrolled: 1-line block ×4, first 2 shown]
	s_wait_alu 0xfffe
	v_mul_f64_e32 v[241:242], s[24:25], v[62:63]
	v_mul_f64_e32 v[243:244], s[24:25], v[58:59]
	v_add_f64_e32 v[76:77], v[76:77], v[46:47]
	v_add_f64_e32 v[78:79], v[78:79], v[44:45]
	v_add_f64_e32 v[44:45], v[42:43], v[38:39]
	v_add_f64_e64 v[46:47], v[32:33], -v[28:29]
	v_add_f64_e64 v[42:43], v[34:35], -v[30:31]
	v_add_f64_e32 v[32:33], v[24:25], v[20:21]
	v_mul_f64_e32 v[181:182], s[42:43], v[54:55]
	v_mul_f64_e32 v[183:184], s[42:43], v[50:51]
	;; [unrolled: 1-line block ×4, first 2 shown]
	v_add_f64_e32 v[76:77], v[76:77], v[38:39]
	v_add_f64_e32 v[78:79], v[78:79], v[36:37]
	;; [unrolled: 1-line block ×3, first 2 shown]
	v_add_f64_e64 v[38:39], v[24:25], -v[20:21]
	v_add_f64_e64 v[34:35], v[26:27], -v[22:23]
	v_add_f64_e32 v[24:25], v[82:83], v[14:15]
	v_mul_f64_e32 v[177:178], s[38:39], v[46:47]
	v_mul_f64_e32 v[179:180], s[38:39], v[42:43]
	;; [unrolled: 1-line block ×7, first 2 shown]
	v_add_f64_e32 v[76:77], v[76:77], v[30:31]
	v_add_f64_e32 v[78:79], v[78:79], v[28:29]
	;; [unrolled: 1-line block ×3, first 2 shown]
	v_add_f64_e64 v[26:27], v[82:83], -v[14:15]
	v_add_f64_e64 v[30:31], v[80:81], -v[12:13]
	v_mul_f64_e32 v[173:174], s[30:31], v[38:39]
	v_mul_f64_e32 v[175:176], s[30:31], v[34:35]
	;; [unrolled: 1-line block ×6, first 2 shown]
	v_add_f64_e32 v[76:77], v[76:77], v[22:23]
	v_add_f64_e32 v[78:79], v[78:79], v[20:21]
	;; [unrolled: 1-line block ×3, first 2 shown]
	v_mul_f64_e32 v[171:172], s[44:45], v[26:27]
	v_mul_f64_e32 v[169:170], s[44:45], v[30:31]
	;; [unrolled: 1-line block ×8, first 2 shown]
	v_add_f64_e32 v[14:15], v[76:77], v[14:15]
	v_add_f64_e64 v[76:77], v[8:9], -v[4:5]
	v_add_f64_e32 v[12:13], v[78:79], v[12:13]
	v_add_f64_e32 v[78:79], v[10:11], v[6:7]
	;; [unrolled: 1-line block ×3, first 2 shown]
	v_add_f64_e64 v[10:11], v[10:11], -v[6:7]
	v_add_f64_e32 v[6:7], v[14:15], v[6:7]
	v_mul_f64_e32 v[82:83], s[42:43], v[76:77]
	v_add_f64_e32 v[4:5], v[12:13], v[4:5]
	v_mul_f64_e32 v[93:94], s[30:31], v[76:77]
	v_mul_f64_e32 v[95:96], s[44:45], v[76:77]
	;; [unrolled: 1-line block ×12, first 2 shown]
	v_fma_f64 v[103:104], v[78:79], s[10:11], v[82:83]
	scratch_store_b128 off, v[4:7], off offset:16 ; 16-byte Folded Spill
	v_fma_f64 v[107:108], v[78:79], s[14:15], v[93:94]
	v_fma_f64 v[109:110], v[78:79], s[16:17], v[95:96]
	;; [unrolled: 1-line block ×3, first 2 shown]
	v_fma_f64 v[12:13], v[78:79], s[0:1], -v[12:13]
	v_fma_f64 v[99:100], v[78:79], s[2:3], v[14:15]
	v_fma_f64 v[14:15], v[78:79], s[2:3], -v[14:15]
	v_fma_f64 v[101:102], v[78:79], s[6:7], v[80:81]
	v_fma_f64 v[80:81], v[78:79], s[6:7], -v[80:81]
	v_fma_f64 v[82:83], v[78:79], s[10:11], -v[82:83]
	v_fma_f64 v[105:106], v[78:79], s[12:13], v[91:92]
	v_fma_f64 v[91:92], v[78:79], s[12:13], -v[91:92]
	v_fma_f64 v[93:94], v[78:79], s[14:15], -v[93:94]
	;; [unrolled: 1-line block ×3, first 2 shown]
	v_fma_f64 v[111:112], v[78:79], s[18:19], v[76:77]
	v_fma_f64 v[113:114], v[78:79], s[18:19], -v[76:77]
	v_mul_f64_e32 v[76:77], s[26:27], v[10:11]
	v_mul_f64_e32 v[78:79], s[34:35], v[10:11]
	;; [unrolled: 1-line block ×3, first 2 shown]
	v_fma_f64 v[137:138], v[8:9], s[16:17], -v[123:124]
	v_fma_f64 v[129:130], v[8:9], s[6:7], -v[115:116]
	v_fma_f64 v[115:116], v[8:9], s[6:7], v[115:116]
	v_fma_f64 v[131:132], v[8:9], s[10:11], -v[117:118]
	v_fma_f64 v[117:118], v[8:9], s[10:11], v[117:118]
	;; [unrolled: 2-line block ×4, first 2 shown]
	v_fma_f64 v[123:124], v[8:9], s[16:17], v[123:124]
	v_mul_f64_e32 v[6:7], s[34:35], v[58:59]
	v_add_f64_e32 v[4:5], v[2:3], v[103:104]
	v_add_f64_e32 v[12:13], v[2:3], v[12:13]
	;; [unrolled: 1-line block ×4, first 2 shown]
	v_mul_f64_e32 v[14:15], s[34:35], v[38:39]
	v_add_f64_e32 v[101:102], v[2:3], v[101:102]
	v_add_f64_e32 v[153:154], v[2:3], v[91:92]
	;; [unrolled: 1-line block ×3, first 2 shown]
	v_fma_f64 v[125:126], v[8:9], s[0:1], -v[76:77]
	v_fma_f64 v[76:77], v[8:9], s[0:1], v[76:77]
	v_fma_f64 v[127:128], v[8:9], s[2:3], -v[78:79]
	v_fma_f64 v[78:79], v[8:9], s[2:3], v[78:79]
	;; [unrolled: 2-line block ×3, first 2 shown]
	v_add_f64_e32 v[10:11], v[2:3], v[97:98]
	v_add_f64_e32 v[129:130], v[0:1], v[129:130]
	v_add_f64_e32 v[131:132], v[0:1], v[131:132]
	v_add_f64_e32 v[117:118], v[0:1], v[117:118]
	v_add_f64_e32 v[133:134], v[0:1], v[133:134]
	v_add_f64_e32 v[119:120], v[0:1], v[119:120]
	v_add_f64_e32 v[135:136], v[0:1], v[135:136]
	v_add_f64_e32 v[121:122], v[0:1], v[121:122]
	scratch_store_b64 off, v[4:5], off offset:88 ; 8-byte Folded Spill
	v_add_f64_e32 v[4:5], v[2:3], v[107:108]
	v_add_f64_e32 v[107:108], v[2:3], v[93:94]
	v_fma_f64 v[91:92], v[28:29], s[2:3], v[14:15]
	v_add_f64_e32 v[97:98], v[0:1], v[125:126]
	v_add_f64_e32 v[125:126], v[0:1], v[76:77]
	;; [unrolled: 1-line block ×9, first 2 shown]
	v_dual_mov_b32 v77, v19 :: v_dual_mov_b32 v76, v18
	s_delay_alu instid0(VALU_DEP_1)
	v_mul_f64_e32 v[223:224], s[36:37], v[76:77]
	v_mul_f64_e32 v[251:252], s[34:35], v[76:77]
	scratch_store_b64 off, v[4:5], off offset:80 ; 8-byte Folded Spill
	v_add_f64_e32 v[4:5], v[2:3], v[109:110]
	v_add_f64_e32 v[109:110], v[2:3], v[113:114]
	scratch_store_b64 off, v[4:5], off offset:72 ; 8-byte Folded Spill
	v_add_f64_e32 v[4:5], v[0:1], v[137:138]
	scratch_store_b64 off, v[4:5], off offset:64 ; 8-byte Folded Spill
	v_add_f64_e32 v[4:5], v[2:3], v[111:112]
	v_add_f64_e32 v[111:112], v[0:1], v[8:9]
	v_mul_f64_e32 v[8:9], s[36:37], v[30:31]
	scratch_store_b64 off, v[4:5], off offset:56 ; 8-byte Folded Spill
	v_add_f64_e32 v[4:5], v[0:1], v[139:140]
	v_fma_f64 v[0:1], v[24:25], s[18:19], v[8:9]
	v_fma_f64 v[8:9], v[24:25], s[18:19], -v[8:9]
	s_delay_alu instid0(VALU_DEP_2) | instskip(SKIP_1) | instid1(VALU_DEP_3)
	v_add_f64_e32 v[0:1], v[0:1], v[10:11]
	v_mul_f64_e32 v[10:11], s[36:37], v[26:27]
	v_add_f64_e32 v[8:9], v[8:9], v[12:13]
	v_fma_f64 v[12:13], v[28:29], s[2:3], -v[14:15]
	v_fma_f64 v[14:15], v[71:72], s[12:13], v[163:164]
	v_add_f64_e32 v[0:1], v[91:92], v[0:1]
	v_fma_f64 v[2:3], v[22:23], s[18:19], -v[10:11]
	v_mul_f64_e32 v[91:92], s[34:35], v[34:35]
	v_fma_f64 v[10:11], v[22:23], s[18:19], v[10:11]
	v_add_f64_e32 v[8:9], v[12:13], v[8:9]
	s_delay_alu instid0(VALU_DEP_4) | instskip(NEXT) | instid1(VALU_DEP_4)
	v_add_f64_e32 v[2:3], v[2:3], v[97:98]
	v_fma_f64 v[93:94], v[32:33], s[2:3], -v[91:92]
	s_delay_alu instid0(VALU_DEP_4) | instskip(SKIP_2) | instid1(VALU_DEP_4)
	v_add_f64_e32 v[10:11], v[10:11], v[125:126]
	v_fma_f64 v[12:13], v[32:33], s[2:3], v[91:92]
	v_mul_f64_e32 v[91:92], s[40:41], v[30:31]
	v_add_f64_e32 v[2:3], v[93:94], v[2:3]
	v_mul_f64_e32 v[93:94], s[28:29], v[46:47]
	s_delay_alu instid0(VALU_DEP_4) | instskip(NEXT) | instid1(VALU_DEP_2)
	v_add_f64_e32 v[10:11], v[12:13], v[10:11]
	v_fma_f64 v[95:96], v[36:37], s[16:17], v[93:94]
	v_fma_f64 v[12:13], v[36:37], s[16:17], -v[93:94]
	v_mul_f64_e32 v[93:94], s[40:41], v[26:27]
	s_delay_alu instid0(VALU_DEP_3) | instskip(SKIP_1) | instid1(VALU_DEP_4)
	v_add_f64_e32 v[0:1], v[95:96], v[0:1]
	v_mul_f64_e32 v[95:96], s[28:29], v[42:43]
	v_add_f64_e32 v[8:9], v[12:13], v[8:9]
	s_delay_alu instid0(VALU_DEP_2) | instskip(SKIP_2) | instid1(VALU_DEP_3)
	v_fma_f64 v[97:98], v[40:41], s[16:17], -v[95:96]
	v_fma_f64 v[12:13], v[40:41], s[16:17], v[95:96]
	v_mul_f64_e32 v[95:96], s[38:39], v[38:39]
	v_add_f64_e32 v[2:3], v[97:98], v[2:3]
	v_mul_f64_e32 v[97:98], s[20:21], v[54:55]
	s_delay_alu instid0(VALU_DEP_4) | instskip(NEXT) | instid1(VALU_DEP_2)
	v_add_f64_e32 v[10:11], v[12:13], v[10:11]
	v_fma_f64 v[113:114], v[44:45], s[6:7], v[97:98]
	v_fma_f64 v[12:13], v[44:45], s[6:7], -v[97:98]
	v_fma_f64 v[97:98], v[28:29], s[12:13], v[95:96]
	v_fma_f64 v[95:96], v[28:29], s[12:13], -v[95:96]
	s_delay_alu instid0(VALU_DEP_4) | instskip(SKIP_2) | instid1(VALU_DEP_2)
	v_add_f64_e32 v[0:1], v[113:114], v[0:1]
	v_mul_f64_e32 v[113:114], s[20:21], v[50:51]
	v_add_f64_e32 v[8:9], v[12:13], v[8:9]
	v_fma_f64 v[123:124], v[48:49], s[6:7], -v[113:114]
	v_fma_f64 v[12:13], v[48:49], s[6:7], v[113:114]
	s_delay_alu instid0(VALU_DEP_2) | instskip(SKIP_1) | instid1(VALU_DEP_3)
	v_add_f64_e32 v[2:3], v[123:124], v[2:3]
	v_mul_f64_e32 v[123:124], s[40:41], v[62:63]
	v_add_f64_e32 v[10:11], v[12:13], v[10:11]
	s_delay_alu instid0(VALU_DEP_2) | instskip(SKIP_1) | instid1(VALU_DEP_2)
	v_fma_f64 v[137:138], v[52:53], s[14:15], v[123:124]
	v_fma_f64 v[12:13], v[52:53], s[14:15], -v[123:124]
	v_add_f64_e32 v[0:1], v[137:138], v[0:1]
	v_mul_f64_e32 v[137:138], s[40:41], v[58:59]
	s_delay_alu instid0(VALU_DEP_3)
	v_add_f64_e32 v[8:9], v[12:13], v[8:9]
	s_mov_b32 s41, 0x3fc7851a
	s_mov_b32 s40, s26
	s_wait_alu 0xfffe
	v_mul_f64_e32 v[229:230], s[40:41], v[38:39]
	v_mul_f64_e32 v[231:232], s[40:41], v[34:35]
	s_delay_alu instid0(VALU_DEP_4) | instskip(SKIP_1) | instid1(VALU_DEP_2)
	v_fma_f64 v[139:140], v[56:57], s[14:15], -v[137:138]
	v_fma_f64 v[12:13], v[56:57], s[14:15], v[137:138]
	v_add_f64_e32 v[2:3], v[139:140], v[2:3]
	v_mul_f64_e32 v[139:140], s[42:43], v[155:156]
	s_delay_alu instid0(VALU_DEP_3) | instskip(NEXT) | instid1(VALU_DEP_2)
	v_add_f64_e32 v[10:11], v[12:13], v[10:11]
	v_fma_f64 v[157:158], v[60:61], s[10:11], v[139:140]
	v_fma_f64 v[12:13], v[60:61], s[10:11], -v[139:140]
	s_delay_alu instid0(VALU_DEP_2) | instskip(SKIP_1) | instid1(VALU_DEP_3)
	v_add_f64_e32 v[0:1], v[157:158], v[0:1]
	v_mul_f64_e32 v[157:158], s[42:43], v[66:67]
	v_add_f64_e32 v[8:9], v[12:13], v[8:9]
	s_delay_alu instid0(VALU_DEP_2) | instskip(SKIP_1) | instid1(VALU_DEP_2)
	v_fma_f64 v[12:13], v[64:65], s[10:11], v[157:158]
	v_fma_f64 v[159:160], v[64:65], s[10:11], -v[157:158]
	v_add_f64_e32 v[12:13], v[12:13], v[10:11]
	s_delay_alu instid0(VALU_DEP_2)
	v_add_f64_e32 v[159:160], v[159:160], v[2:3]
	v_fma_f64 v[2:3], v[74:75], s[12:13], v[161:162]
	v_fma_f64 v[10:11], v[74:75], s[12:13], -v[161:162]
	v_mul_f64_e32 v[161:162], s[42:43], v[16:17]
	v_add_f64_e32 v[149:150], v[14:15], v[12:13]
	v_fma_f64 v[12:13], v[24:25], s[14:15], v[91:92]
	v_fma_f64 v[14:15], v[22:23], s[14:15], -v[93:94]
	v_fma_f64 v[91:92], v[24:25], s[14:15], -v[91:92]
	v_fma_f64 v[93:94], v[22:23], s[14:15], v[93:94]
	v_add_f64_e32 v[2:3], v[2:3], v[0:1]
	v_fma_f64 v[0:1], v[71:72], s[12:13], -v[163:164]
	v_mul_f64_e32 v[163:164], s[42:43], v[18:19]
	s_mov_b32 s43, 0x3fe0d888
	s_mov_b32 s42, s34
	v_mul_f64_e32 v[18:19], s[36:37], v[42:43]
	s_wait_alu 0xfffe
	v_mul_f64_e32 v[209:210], s[42:43], v[54:55]
	v_mul_f64_e32 v[211:212], s[42:43], v[50:51]
	v_add_f64_e32 v[151:152], v[10:11], v[8:9]
	v_mul_f64_e32 v[8:9], s[34:35], v[62:63]
	v_fma_f64 v[10:11], v[56:57], s[2:3], v[6:7]
	v_fma_f64 v[6:7], v[56:57], s[2:3], -v[6:7]
	v_add_f64_e32 v[12:13], v[12:13], v[99:100]
	v_add_f64_e32 v[14:15], v[14:15], v[127:128]
	v_add_f64_e32 v[91:92], v[91:92], v[141:142]
	v_add_f64_e32 v[93:94], v[93:94], v[143:144]
	v_mul_f64_e32 v[141:142], s[22:23], v[54:55]
	v_add_f64_e32 v[0:1], v[0:1], v[159:160]
	v_mul_f64_e32 v[143:144], s[22:23], v[50:51]
	scratch_store_b64 off, v[4:5], off offset:48 ; 8-byte Folded Spill
	v_mul_f64_e32 v[4:5], s[46:47], v[155:156]
	v_add_f64_e32 v[12:13], v[97:98], v[12:13]
	v_mul_f64_e32 v[97:98], s[38:39], v[34:35]
	v_add_f64_e32 v[91:92], v[95:96], v[91:92]
	scratch_store_b128 off, v[0:3], off offset:32 ; 16-byte Folded Spill
	v_mul_f64_e32 v[2:3], s[46:47], v[66:67]
	v_mul_f64_e32 v[0:1], s[28:29], v[16:17]
	v_fma_f64 v[99:100], v[32:33], s[12:13], -v[97:98]
	v_fma_f64 v[95:96], v[32:33], s[12:13], v[97:98]
	v_fma_f64 v[97:98], v[71:72], s[10:11], v[163:164]
	s_delay_alu instid0(VALU_DEP_3) | instskip(SKIP_1) | instid1(VALU_DEP_4)
	v_add_f64_e32 v[14:15], v[99:100], v[14:15]
	v_mul_f64_e32 v[99:100], s[46:47], v[46:47]
	v_add_f64_e32 v[93:94], v[95:96], v[93:94]
	s_delay_alu instid0(VALU_DEP_2) | instskip(SKIP_1) | instid1(VALU_DEP_2)
	v_fma_f64 v[113:114], v[36:37], s[6:7], v[99:100]
	v_fma_f64 v[95:96], v[36:37], s[6:7], -v[99:100]
	v_add_f64_e32 v[12:13], v[113:114], v[12:13]
	v_mul_f64_e32 v[113:114], s[46:47], v[42:43]
	s_delay_alu instid0(VALU_DEP_3) | instskip(NEXT) | instid1(VALU_DEP_2)
	v_add_f64_e32 v[91:92], v[95:96], v[91:92]
	v_fma_f64 v[123:124], v[40:41], s[6:7], -v[113:114]
	v_fma_f64 v[95:96], v[40:41], s[6:7], v[113:114]
	s_delay_alu instid0(VALU_DEP_2) | instskip(SKIP_1) | instid1(VALU_DEP_3)
	v_add_f64_e32 v[14:15], v[123:124], v[14:15]
	v_mul_f64_e32 v[123:124], s[24:25], v[54:55]
	v_add_f64_e32 v[93:94], v[95:96], v[93:94]
	v_mul_f64_e32 v[54:55], s[26:27], v[54:55]
	s_delay_alu instid0(VALU_DEP_3) | instskip(SKIP_2) | instid1(VALU_DEP_3)
	v_fma_f64 v[125:126], v[44:45], s[18:19], v[123:124]
	v_fma_f64 v[95:96], v[44:45], s[18:19], -v[123:124]
	v_mul_f64_e32 v[123:124], s[48:49], v[30:31]
	v_add_f64_e32 v[12:13], v[125:126], v[12:13]
	v_mul_f64_e32 v[125:126], s[24:25], v[50:51]
	s_delay_alu instid0(VALU_DEP_4) | instskip(NEXT) | instid1(VALU_DEP_2)
	v_add_f64_e32 v[91:92], v[95:96], v[91:92]
	v_fma_f64 v[127:128], v[48:49], s[18:19], -v[125:126]
	v_fma_f64 v[95:96], v[48:49], s[18:19], v[125:126]
	v_mul_f64_e32 v[125:126], s[48:49], v[26:27]
	s_delay_alu instid0(VALU_DEP_3) | instskip(SKIP_1) | instid1(VALU_DEP_4)
	v_add_f64_e32 v[14:15], v[127:128], v[14:15]
	v_mul_f64_e32 v[127:128], s[26:27], v[62:63]
	v_add_f64_e32 v[93:94], v[95:96], v[93:94]
	s_delay_alu instid0(VALU_DEP_2) | instskip(SKIP_3) | instid1(VALU_DEP_4)
	v_fma_f64 v[137:138], v[52:53], s[0:1], v[127:128]
	v_fma_f64 v[95:96], v[52:53], s[0:1], -v[127:128]
	v_mul_f64_e32 v[127:128], s[24:25], v[38:39]
	v_mul_f64_e32 v[38:39], s[28:29], v[38:39]
	v_add_f64_e32 v[12:13], v[137:138], v[12:13]
	v_mul_f64_e32 v[137:138], s[26:27], v[58:59]
	v_add_f64_e32 v[91:92], v[95:96], v[91:92]
	v_fma_f64 v[99:100], v[28:29], s[18:19], v[127:128]
	s_delay_alu instid0(VALU_DEP_3) | instskip(SKIP_3) | instid1(VALU_DEP_4)
	v_fma_f64 v[139:140], v[56:57], s[0:1], -v[137:138]
	v_fma_f64 v[95:96], v[56:57], s[0:1], v[137:138]
	v_mul_f64_e32 v[137:138], s[34:35], v[46:47]
	v_mul_f64_e32 v[46:47], s[30:31], v[46:47]
	v_add_f64_e32 v[14:15], v[139:140], v[14:15]
	v_mul_f64_e32 v[139:140], s[28:29], v[155:156]
	v_add_f64_e32 v[93:94], v[95:96], v[93:94]
	s_delay_alu instid0(VALU_DEP_2) | instskip(SKIP_3) | instid1(VALU_DEP_4)
	v_fma_f64 v[157:158], v[60:61], s[16:17], v[139:140]
	v_fma_f64 v[95:96], v[60:61], s[16:17], -v[139:140]
	v_mul_f64_e32 v[139:140], s[34:35], v[42:43]
	v_mul_f64_e32 v[42:43], s[30:31], v[42:43]
	v_add_f64_e32 v[12:13], v[157:158], v[12:13]
	v_mul_f64_e32 v[157:158], s[28:29], v[66:67]
	v_add_f64_e32 v[91:92], v[95:96], v[91:92]
	s_delay_alu instid0(VALU_DEP_2) | instskip(SKIP_3) | instid1(VALU_DEP_4)
	v_fma_f64 v[95:96], v[64:65], s[16:17], v[157:158]
	v_fma_f64 v[159:160], v[64:65], s[16:17], -v[157:158]
	v_mul_f64_e32 v[157:158], s[44:45], v[62:63]
	v_mul_f64_e32 v[62:63], s[22:23], v[62:63]
	v_add_f64_e32 v[95:96], v[95:96], v[93:94]
	v_fma_f64 v[93:94], v[74:75], s[10:11], -v[161:162]
	v_add_f64_e32 v[159:160], v[159:160], v[14:15]
	v_fma_f64 v[14:15], v[74:75], s[10:11], v[161:162]
	v_mul_f64_e32 v[161:162], s[26:27], v[155:156]
	v_mul_f64_e32 v[155:156], s[24:25], v[155:156]
	v_add_f64_e32 v[93:94], v[93:94], v[91:92]
	v_add_f64_e32 v[91:92], v[97:98], v[95:96]
	v_fma_f64 v[95:96], v[24:25], s[10:11], v[123:124]
	v_fma_f64 v[97:98], v[22:23], s[10:11], -v[125:126]
	v_add_f64_e32 v[147:148], v[14:15], v[12:13]
	v_fma_f64 v[12:13], v[71:72], s[10:11], -v[163:164]
	v_mul_f64_e32 v[163:164], s[26:27], v[66:67]
	v_fma_f64 v[14:15], v[60:61], s[6:7], -v[4:5]
	v_mul_f64_e32 v[66:67], s[24:25], v[66:67]
	v_fma_f64 v[4:5], v[60:61], s[6:7], v[4:5]
	v_add_f64_e32 v[95:96], v[95:96], v[101:102]
	v_add_f64_e32 v[97:98], v[97:98], v[129:130]
	v_mul_f64_e32 v[129:130], s[24:25], v[34:35]
	v_add_f64_e32 v[145:146], v[12:13], v[159:160]
	v_mul_f64_e32 v[159:160], s[44:45], v[58:59]
	v_fma_f64 v[101:102], v[22:23], s[16:17], v[171:172]
	v_mul_f64_e32 v[12:13], s[30:31], v[50:51]
	v_mul_f64_e32 v[34:35], s[28:29], v[34:35]
	;; [unrolled: 1-line block ×4, first 2 shown]
	v_add_f64_e32 v[95:96], v[99:100], v[95:96]
	v_fma_f64 v[99:100], v[32:33], s[18:19], -v[129:130]
	v_add_f64_e32 v[101:102], v[101:102], v[111:112]
	v_fma_f64 v[111:112], v[28:29], s[0:1], -v[229:230]
	s_delay_alu instid0(VALU_DEP_3) | instskip(SKIP_1) | instid1(VALU_DEP_1)
	v_add_f64_e32 v[97:98], v[99:100], v[97:98]
	v_fma_f64 v[99:100], v[36:37], s[2:3], v[137:138]
	v_add_f64_e32 v[95:96], v[99:100], v[95:96]
	v_fma_f64 v[99:100], v[40:41], s[2:3], -v[139:140]
	s_delay_alu instid0(VALU_DEP_1) | instskip(SKIP_1) | instid1(VALU_DEP_1)
	v_add_f64_e32 v[97:98], v[99:100], v[97:98]
	v_fma_f64 v[99:100], v[44:45], s[12:13], v[141:142]
	v_add_f64_e32 v[95:96], v[99:100], v[95:96]
	v_fma_f64 v[99:100], v[48:49], s[12:13], -v[143:144]
	s_delay_alu instid0(VALU_DEP_1) | instskip(SKIP_1) | instid1(VALU_DEP_1)
	;; [unrolled: 5-line block ×5, first 2 shown]
	v_add_f64_e32 v[95:96], v[95:96], v[99:100]
	v_fma_f64 v[99:100], v[24:25], s[16:17], -v[169:170]
	v_add_f64_e32 v[99:100], v[99:100], v[109:110]
	v_fma_f64 v[109:110], v[28:29], s[14:15], -v[173:174]
	s_delay_alu instid0(VALU_DEP_1) | instskip(SKIP_1) | instid1(VALU_DEP_1)
	v_add_f64_e32 v[99:100], v[109:110], v[99:100]
	v_fma_f64 v[109:110], v[32:33], s[14:15], v[175:176]
	v_add_f64_e32 v[101:102], v[109:110], v[101:102]
	v_fma_f64 v[109:110], v[36:37], s[12:13], -v[177:178]
	s_delay_alu instid0(VALU_DEP_1) | instskip(SKIP_1) | instid1(VALU_DEP_1)
	v_add_f64_e32 v[99:100], v[109:110], v[99:100]
	v_fma_f64 v[109:110], v[40:41], s[12:13], v[179:180]
	;; [unrolled: 5-line block ×13, first 2 shown]
	v_add_f64_e32 v[103:104], v[103:104], v[109:110]
	v_fma_f64 v[109:110], v[24:25], s[6:7], -v[225:226]
	s_delay_alu instid0(VALU_DEP_1) | instskip(SKIP_1) | instid1(VALU_DEP_2)
	v_add_f64_e32 v[107:108], v[109:110], v[107:108]
	v_fma_f64 v[109:110], v[22:23], s[6:7], v[227:228]
	v_add_f64_e32 v[107:108], v[111:112], v[107:108]
	s_delay_alu instid0(VALU_DEP_2) | instskip(SKIP_2) | instid1(VALU_DEP_2)
	v_add_f64_e32 v[109:110], v[109:110], v[121:122]
	v_fma_f64 v[111:112], v[32:33], s[0:1], v[231:232]
	v_mul_f64_e32 v[121:122], s[20:21], v[76:77]
	v_add_f64_e32 v[109:110], v[111:112], v[109:110]
	v_fma_f64 v[111:112], v[36:37], s[10:11], -v[233:234]
	s_delay_alu instid0(VALU_DEP_1) | instskip(SKIP_1) | instid1(VALU_DEP_1)
	v_add_f64_e32 v[107:108], v[111:112], v[107:108]
	v_fma_f64 v[111:112], v[40:41], s[10:11], v[235:236]
	v_add_f64_e32 v[109:110], v[111:112], v[109:110]
	v_fma_f64 v[111:112], v[44:45], s[16:17], -v[237:238]
	s_delay_alu instid0(VALU_DEP_1) | instskip(SKIP_1) | instid1(VALU_DEP_1)
	v_add_f64_e32 v[107:108], v[111:112], v[107:108]
	v_fma_f64 v[111:112], v[48:49], s[16:17], v[239:240]
	;; [unrolled: 5-line block ×5, first 2 shown]
	v_add_f64_e32 v[107:108], v[107:108], v[111:112]
	v_fma_f64 v[111:112], v[24:25], s[0:1], -v[253:254]
	s_delay_alu instid0(VALU_DEP_1) | instskip(SKIP_2) | instid1(VALU_DEP_2)
	v_add_f64_e32 v[111:112], v[111:112], v[153:154]
	v_mul_f64_e32 v[153:154], s[26:27], v[26:27]
	v_mul_f64_e32 v[26:27], s[42:43], v[26:27]
	v_fma_f64 v[113:114], v[22:23], s[0:1], v[153:154]
	s_delay_alu instid0(VALU_DEP_1) | instskip(SKIP_1) | instid1(VALU_DEP_1)
	v_add_f64_e32 v[113:114], v[113:114], v[119:120]
	v_fma_f64 v[119:120], v[28:29], s[10:11], -v[69:70]
	v_add_f64_e32 v[111:112], v[119:120], v[111:112]
	v_fma_f64 v[119:120], v[32:33], s[10:11], v[88:89]
	s_delay_alu instid0(VALU_DEP_1) | instskip(SKIP_1) | instid1(VALU_DEP_1)
	v_add_f64_e32 v[113:114], v[119:120], v[113:114]
	v_fma_f64 v[119:120], v[36:37], s[18:19], -v[85:86]
	v_add_f64_e32 v[111:112], v[119:120], v[111:112]
	v_fma_f64 v[119:120], v[40:41], s[18:19], v[18:19]
	v_fma_f64 v[18:19], v[40:41], s[18:19], -v[18:19]
	s_delay_alu instid0(VALU_DEP_2) | instskip(SKIP_1) | instid1(VALU_DEP_1)
	v_add_f64_e32 v[113:114], v[119:120], v[113:114]
	v_fma_f64 v[119:120], v[44:45], s[14:15], -v[20:21]
	v_add_f64_e32 v[111:112], v[119:120], v[111:112]
	v_fma_f64 v[119:120], v[48:49], s[14:15], v[12:13]
	v_fma_f64 v[12:13], v[48:49], s[14:15], -v[12:13]
	s_delay_alu instid0(VALU_DEP_2) | instskip(SKIP_2) | instid1(VALU_DEP_3)
	v_add_f64_e32 v[113:114], v[119:120], v[113:114]
	v_fma_f64 v[119:120], v[52:53], s[2:3], -v[8:9]
	v_fma_f64 v[8:9], v[52:53], s[2:3], v[8:9]
	v_add_f64_e32 v[10:11], v[10:11], v[113:114]
	s_delay_alu instid0(VALU_DEP_3)
	v_add_f64_e32 v[111:112], v[119:120], v[111:112]
	v_mul_f64_e32 v[119:120], s[20:21], v[16:17]
	scratch_load_b64 v[16:17], off, off offset:88 th:TH_LOAD_LU ; 8-byte Folded Reload
	v_add_f64_e32 v[14:15], v[14:15], v[111:112]
	v_fma_f64 v[111:112], v[64:65], s[6:7], v[2:3]
	v_fma_f64 v[2:3], v[64:65], s[6:7], -v[2:3]
	s_delay_alu instid0(VALU_DEP_2) | instskip(SKIP_2) | instid1(VALU_DEP_2)
	v_add_f64_e32 v[10:11], v[111:112], v[10:11]
	v_fma_f64 v[111:112], v[74:75], s[16:17], -v[0:1]
	v_fma_f64 v[0:1], v[74:75], s[16:17], v[0:1]
	v_add_f64_e32 v[113:114], v[111:112], v[14:15]
	v_mul_f64_e32 v[14:15], s[28:29], v[76:77]
	s_delay_alu instid0(VALU_DEP_1) | instskip(NEXT) | instid1(VALU_DEP_1)
	v_fma_f64 v[111:112], v[71:72], s[16:17], v[14:15]
	v_add_f64_e32 v[111:112], v[111:112], v[10:11]
	v_mul_f64_e32 v[10:11], s[42:43], v[30:31]
	s_delay_alu instid0(VALU_DEP_1) | instskip(SKIP_1) | instid1(VALU_DEP_2)
	v_fma_f64 v[30:31], v[24:25], s[2:3], -v[10:11]
	v_fma_f64 v[10:11], v[24:25], s[2:3], v[10:11]
	v_add_f64_e32 v[30:31], v[30:31], v[115:116]
	v_fma_f64 v[115:116], v[22:23], s[2:3], v[26:27]
	v_fma_f64 v[26:27], v[22:23], s[2:3], -v[26:27]
	s_delay_alu instid0(VALU_DEP_2) | instskip(SKIP_1) | instid1(VALU_DEP_3)
	v_add_f64_e32 v[115:116], v[115:116], v[117:118]
	v_fma_f64 v[117:118], v[28:29], s[16:17], -v[38:39]
	v_add_f64_e32 v[26:27], v[26:27], v[131:132]
	s_wait_loadcnt 0x0
	v_add_f64_e32 v[10:11], v[10:11], v[16:17]
	v_fma_f64 v[16:17], v[44:45], s[14:15], v[20:21]
	s_delay_alu instid0(VALU_DEP_4) | instskip(SKIP_1) | instid1(VALU_DEP_1)
	v_add_f64_e32 v[30:31], v[117:118], v[30:31]
	v_fma_f64 v[117:118], v[32:33], s[16:17], v[34:35]
	v_add_f64_e32 v[115:116], v[117:118], v[115:116]
	v_fma_f64 v[117:118], v[36:37], s[14:15], -v[46:47]
	s_delay_alu instid0(VALU_DEP_1) | instskip(SKIP_1) | instid1(VALU_DEP_1)
	v_add_f64_e32 v[30:31], v[117:118], v[30:31]
	v_fma_f64 v[117:118], v[40:41], s[14:15], v[42:43]
	v_add_f64_e32 v[115:116], v[117:118], v[115:116]
	v_fma_f64 v[117:118], v[44:45], s[0:1], -v[54:55]
	s_delay_alu instid0(VALU_DEP_1) | instskip(SKIP_1) | instid1(VALU_DEP_1)
	;; [unrolled: 5-line block ×5, first 2 shown]
	v_add_f64_e32 v[117:118], v[117:118], v[30:31]
	v_fma_f64 v[30:31], v[71:72], s[6:7], v[121:122]
	v_add_f64_e32 v[115:116], v[30:31], v[115:116]
	v_fma_f64 v[30:31], v[24:25], s[10:11], -v[123:124]
	v_fma_f64 v[123:124], v[71:72], s[14:15], v[167:168]
	s_delay_alu instid0(VALU_DEP_2) | instskip(SKIP_1) | instid1(VALU_DEP_1)
	v_add_f64_e32 v[30:31], v[30:31], v[78:79]
	v_fma_f64 v[78:79], v[22:23], s[10:11], v[125:126]
	v_add_f64_e32 v[78:79], v[78:79], v[80:81]
	v_fma_f64 v[80:81], v[28:29], s[18:19], -v[127:128]
	s_delay_alu instid0(VALU_DEP_1) | instskip(SKIP_1) | instid1(VALU_DEP_1)
	v_add_f64_e32 v[30:31], v[80:81], v[30:31]
	v_fma_f64 v[80:81], v[32:33], s[18:19], v[129:130]
	v_add_f64_e32 v[78:79], v[80:81], v[78:79]
	v_fma_f64 v[80:81], v[36:37], s[2:3], -v[137:138]
	s_delay_alu instid0(VALU_DEP_1) | instskip(SKIP_1) | instid1(VALU_DEP_1)
	;; [unrolled: 5-line block ×5, first 2 shown]
	v_add_f64_e32 v[30:31], v[80:81], v[30:31]
	v_fma_f64 v[80:81], v[64:65], s[0:1], v[163:164]
	v_add_f64_e32 v[78:79], v[80:81], v[78:79]
	v_fma_f64 v[80:81], v[74:75], s[14:15], -v[165:166]
	s_delay_alu instid0(VALU_DEP_2) | instskip(NEXT) | instid1(VALU_DEP_2)
	v_add_f64_e32 v[137:138], v[123:124], v[78:79]
	v_add_f64_e32 v[139:140], v[80:81], v[30:31]
	v_fma_f64 v[30:31], v[28:29], s[16:17], v[38:39]
	s_delay_alu instid0(VALU_DEP_1) | instskip(SKIP_2) | instid1(VALU_DEP_2)
	v_add_f64_e32 v[10:11], v[30:31], v[10:11]
	v_fma_f64 v[30:31], v[32:33], s[16:17], -v[34:35]
	v_fma_f64 v[34:35], v[71:72], s[6:7], -v[121:122]
	v_add_f64_e32 v[26:27], v[30:31], v[26:27]
	v_fma_f64 v[30:31], v[36:37], s[14:15], v[46:47]
	s_delay_alu instid0(VALU_DEP_1) | instskip(SKIP_1) | instid1(VALU_DEP_1)
	v_add_f64_e32 v[10:11], v[30:31], v[10:11]
	v_fma_f64 v[30:31], v[40:41], s[14:15], -v[42:43]
	v_add_f64_e32 v[26:27], v[30:31], v[26:27]
	v_fma_f64 v[30:31], v[44:45], s[0:1], v[54:55]
	s_delay_alu instid0(VALU_DEP_1) | instskip(SKIP_1) | instid1(VALU_DEP_1)
	v_add_f64_e32 v[10:11], v[30:31], v[10:11]
	;; [unrolled: 5-line block ×4, first 2 shown]
	v_fma_f64 v[30:31], v[64:65], s[18:19], -v[66:67]
	v_add_f64_e32 v[26:27], v[30:31], v[26:27]
	v_fma_f64 v[30:31], v[74:75], s[6:7], v[119:120]
	s_delay_alu instid0(VALU_DEP_2) | instskip(NEXT) | instid1(VALU_DEP_2)
	v_add_f64_e32 v[123:124], v[34:35], v[26:27]
	v_add_f64_e32 v[125:126], v[30:31], v[10:11]
	v_fma_f64 v[10:11], v[24:25], s[0:1], v[253:254]
	v_fma_f64 v[26:27], v[22:23], s[0:1], -v[153:154]
	v_fma_f64 v[30:31], v[28:29], s[10:11], v[69:70]
	s_delay_alu instid0(VALU_DEP_3) | instskip(NEXT) | instid1(VALU_DEP_3)
	v_add_f64_e32 v[10:11], v[10:11], v[82:83]
	v_add_f64_e32 v[26:27], v[26:27], v[133:134]
	s_delay_alu instid0(VALU_DEP_2) | instskip(SKIP_1) | instid1(VALU_DEP_1)
	v_add_f64_e32 v[10:11], v[30:31], v[10:11]
	v_fma_f64 v[30:31], v[32:33], s[10:11], -v[88:89]
	v_add_f64_e32 v[26:27], v[30:31], v[26:27]
	v_fma_f64 v[30:31], v[36:37], s[18:19], v[85:86]
	s_delay_alu instid0(VALU_DEP_2) | instskip(NEXT) | instid1(VALU_DEP_2)
	v_add_f64_e32 v[18:19], v[18:19], v[26:27]
	v_add_f64_e32 v[10:11], v[30:31], v[10:11]
	s_delay_alu instid0(VALU_DEP_2) | instskip(NEXT) | instid1(VALU_DEP_2)
	v_add_f64_e32 v[12:13], v[12:13], v[18:19]
	v_add_f64_e32 v[10:11], v[16:17], v[10:11]
	;; [unrolled: 3-line block ×3, first 2 shown]
	s_delay_alu instid0(VALU_DEP_2) | instskip(SKIP_1) | instid1(VALU_DEP_3)
	v_add_f64_e32 v[2:3], v[2:3], v[6:7]
	v_fma_f64 v[6:7], v[71:72], s[16:17], -v[14:15]
	v_add_f64_e32 v[4:5], v[4:5], v[8:9]
	scratch_load_b64 v[8:9], off, off offset:48 th:TH_LOAD_LU ; 8-byte Folded Reload
	v_add_f64_e32 v[127:128], v[6:7], v[2:3]
	scratch_load_b64 v[2:3], off, off offset:80 th:TH_LOAD_LU ; 8-byte Folded Reload
	v_add_f64_e32 v[129:130], v[0:1], v[4:5]
	v_fma_f64 v[0:1], v[24:25], s[6:7], v[225:226]
	v_fma_f64 v[4:5], v[28:29], s[0:1], v[229:230]
	v_fma_f64 v[6:7], v[71:72], s[2:3], -v[251:252]
	s_wait_loadcnt 0x0
	s_delay_alu instid0(VALU_DEP_3) | instskip(SKIP_1) | instid1(VALU_DEP_2)
	v_add_f64_e32 v[0:1], v[0:1], v[2:3]
	v_fma_f64 v[2:3], v[22:23], s[6:7], -v[227:228]
	v_add_f64_e32 v[0:1], v[4:5], v[0:1]
	s_delay_alu instid0(VALU_DEP_2) | instskip(SKIP_1) | instid1(VALU_DEP_1)
	v_add_f64_e32 v[2:3], v[2:3], v[135:136]
	v_fma_f64 v[4:5], v[32:33], s[0:1], -v[231:232]
	v_add_f64_e32 v[2:3], v[4:5], v[2:3]
	v_fma_f64 v[4:5], v[36:37], s[10:11], v[233:234]
	s_delay_alu instid0(VALU_DEP_1) | instskip(SKIP_1) | instid1(VALU_DEP_1)
	v_add_f64_e32 v[0:1], v[4:5], v[0:1]
	v_fma_f64 v[4:5], v[40:41], s[10:11], -v[235:236]
	v_add_f64_e32 v[2:3], v[4:5], v[2:3]
	v_fma_f64 v[4:5], v[44:45], s[16:17], v[237:238]
	s_delay_alu instid0(VALU_DEP_1) | instskip(SKIP_1) | instid1(VALU_DEP_1)
	;; [unrolled: 5-line block ×4, first 2 shown]
	v_add_f64_e32 v[0:1], v[4:5], v[0:1]
	v_fma_f64 v[4:5], v[64:65], s[12:13], -v[247:248]
	v_add_f64_e32 v[2:3], v[4:5], v[2:3]
	v_fma_f64 v[4:5], v[74:75], s[2:3], v[249:250]
	s_delay_alu instid0(VALU_DEP_2)
	v_add_f64_e32 v[131:132], v[6:7], v[2:3]
	scratch_load_b64 v[2:3], off, off offset:72 th:TH_LOAD_LU ; 8-byte Folded Reload
	v_add_f64_e32 v[133:134], v[4:5], v[0:1]
	scratch_load_b64 v[4:5], off, off offset:64 th:TH_LOAD_LU ; 8-byte Folded Reload
	v_fma_f64 v[0:1], v[24:25], s[12:13], v[197:198]
	v_fma_f64 v[6:7], v[71:72], s[18:19], -v[223:224]
	s_wait_loadcnt 0x1
	s_delay_alu instid0(VALU_DEP_2) | instskip(SKIP_2) | instid1(VALU_DEP_1)
	v_add_f64_e32 v[0:1], v[0:1], v[2:3]
	v_fma_f64 v[2:3], v[22:23], s[12:13], -v[199:200]
	s_wait_loadcnt 0x0
	v_add_f64_e32 v[2:3], v[2:3], v[4:5]
	v_fma_f64 v[4:5], v[28:29], s[6:7], v[201:202]
	s_delay_alu instid0(VALU_DEP_1) | instskip(SKIP_1) | instid1(VALU_DEP_1)
	v_add_f64_e32 v[0:1], v[4:5], v[0:1]
	v_fma_f64 v[4:5], v[32:33], s[6:7], -v[203:204]
	v_add_f64_e32 v[2:3], v[4:5], v[2:3]
	v_fma_f64 v[4:5], v[36:37], s[0:1], v[205:206]
	s_delay_alu instid0(VALU_DEP_1) | instskip(SKIP_1) | instid1(VALU_DEP_1)
	v_add_f64_e32 v[0:1], v[4:5], v[0:1]
	v_fma_f64 v[4:5], v[40:41], s[0:1], -v[207:208]
	;; [unrolled: 5-line block ×5, first 2 shown]
	v_add_f64_e32 v[2:3], v[4:5], v[2:3]
	v_fma_f64 v[4:5], v[74:75], s[18:19], v[221:222]
	s_delay_alu instid0(VALU_DEP_2)
	v_add_f64_e32 v[80:81], v[6:7], v[2:3]
	scratch_load_b64 v[6:7], off, off offset:56 th:TH_LOAD_LU ; 8-byte Folded Reload
	v_add_f64_e32 v[82:83], v[4:5], v[0:1]
	v_fma_f64 v[0:1], v[24:25], s[16:17], v[169:170]
	v_fma_f64 v[2:3], v[22:23], s[16:17], -v[171:172]
	v_fma_f64 v[4:5], v[28:29], s[14:15], v[173:174]
	s_delay_alu instid0(VALU_DEP_2) | instskip(SKIP_4) | instid1(VALU_DEP_2)
	v_add_f64_e32 v[2:3], v[2:3], v[8:9]
	v_fma_f64 v[8:9], v[36:37], s[12:13], v[177:178]
	s_wait_loadcnt 0x0
	v_add_f64_e32 v[0:1], v[0:1], v[6:7]
	v_fma_f64 v[6:7], v[32:33], s[14:15], -v[175:176]
	v_add_f64_e32 v[0:1], v[4:5], v[0:1]
	v_fma_f64 v[4:5], v[40:41], s[12:13], -v[179:180]
	s_delay_alu instid0(VALU_DEP_3) | instskip(SKIP_1) | instid1(VALU_DEP_4)
	v_add_f64_e32 v[2:3], v[6:7], v[2:3]
	v_fma_f64 v[6:7], v[44:45], s[10:11], v[181:182]
	v_add_f64_e32 v[0:1], v[8:9], v[0:1]
	v_fma_f64 v[8:9], v[48:49], s[10:11], -v[183:184]
	s_delay_alu instid0(VALU_DEP_4) | instskip(SKIP_1) | instid1(VALU_DEP_4)
	v_add_f64_e32 v[2:3], v[4:5], v[2:3]
	v_fma_f64 v[4:5], v[52:53], s[6:7], v[185:186]
	v_add_f64_e32 v[0:1], v[6:7], v[0:1]
	v_fma_f64 v[6:7], v[56:57], s[6:7], -v[187:188]
	s_delay_alu instid0(VALU_DEP_4) | instskip(SKIP_1) | instid1(VALU_DEP_4)
	;; [unrolled: 5-line block ×3, first 2 shown]
	v_add_f64_e32 v[2:3], v[6:7], v[2:3]
	v_fma_f64 v[6:7], v[74:75], s[0:1], v[193:194]
	v_add_f64_e32 v[0:1], v[8:9], v[0:1]
	v_fma_f64 v[8:9], v[71:72], s[0:1], -v[195:196]
	s_delay_alu instid0(VALU_DEP_4) | instskip(NEXT) | instid1(VALU_DEP_3)
	v_add_f64_e32 v[2:3], v[4:5], v[2:3]
	v_add_f64_e32 v[18:19], v[6:7], v[0:1]
	v_mul_u32_u24_e32 v0, 0x110, v68
	s_delay_alu instid0(VALU_DEP_3)
	v_add_f64_e32 v[16:17], v[8:9], v[2:3]
	scratch_load_b128 v[1:4], off, off offset:16 th:TH_LOAD_LU ; 16-byte Folded Reload
	v_add3_u32 v0, 0, v0, v73
	s_wait_loadcnt 0x0
	ds_store_b128 v0, v[1:4]
	ds_store_b128 v0, v[99:102] offset:16
	ds_store_b128 v0, v[103:106] offset:32
	;; [unrolled: 1-line block ×3, first 2 shown]
	s_clause 0x1
	scratch_load_b32 v119, off, off offset:12
	scratch_load_b64 v[108:109], off, off
	ds_store_b128 v0, v[111:114] offset:64
	scratch_load_b32 v111, off, off offset:8 ; 4-byte Folded Reload
	ds_store_b128 v0, v[115:118] offset:80
	ds_store_b128 v0, v[137:140] offset:96
	;; [unrolled: 1-line block ×4, first 2 shown]
	scratch_load_b128 v[1:4], off, off offset:32 th:TH_LOAD_LU ; 16-byte Folded Reload
	v_mov_b32_e32 v110, v90
	s_wait_loadcnt 0x0
	ds_store_b128 v0, v[1:4] offset:144
	ds_store_b128 v0, v[145:148] offset:160
	;; [unrolled: 1-line block ×8, first 2 shown]
.LBB0_12:
	s_or_b32 exec_lo, exec_lo, s33
	v_mul_u32_u24_e32 v0, 6, v68
	global_wb scope:SCOPE_SE
	s_wait_storecnt_dscnt 0x0
	s_barrier_signal -1
	s_barrier_wait -1
	global_inv scope:SCOPE_SE
	v_lshlrev_b32_e32 v20, 4, v0
	s_mov_b32 s0, 0x37e14327
	s_mov_b32 s6, 0xe976ee23
	s_mov_b32 s1, 0x3fe948f6
	s_mov_b32 s2, 0x36b3c0b5
	s_clause 0x5
	global_load_b128 v[0:3], v20, s[4:5]
	global_load_b128 v[4:7], v20, s[4:5] offset:16
	global_load_b128 v[8:11], v20, s[4:5] offset:80
	;; [unrolled: 1-line block ×5, first 2 shown]
	ds_load_b128 v[24:27], v87 offset:544
	ds_load_b128 v[28:31], v87 offset:1088
	;; [unrolled: 1-line block ×12, first 2 shown]
	s_mov_b32 s7, 0x3fe11646
	s_mov_b32 s10, 0x429ad128
	;; [unrolled: 1-line block ×9, first 2 shown]
	s_wait_alu 0xfffe
	s_mov_b32 s16, s14
	s_wait_loadcnt_dscnt 0x50b
	v_mul_f64_e32 v[69:70], v[26:27], v[2:3]
	v_mul_f64_e32 v[76:77], v[24:25], v[2:3]
	s_wait_loadcnt_dscnt 0x40a
	v_mul_f64_e32 v[78:79], v[30:31], v[6:7]
	v_mul_f64_e32 v[80:81], v[28:29], v[6:7]
	s_wait_loadcnt_dscnt 0x309
	v_mul_f64_e32 v[82:83], v[34:35], v[10:11]
	v_mul_f64_e32 v[85:86], v[32:33], v[10:11]
	s_wait_loadcnt_dscnt 0x208
	v_mul_f64_e32 v[88:89], v[38:39], v[14:15]
	v_mul_f64_e32 v[90:91], v[36:37], v[14:15]
	s_wait_dscnt 0x7
	v_mul_f64_e32 v[92:93], v[42:43], v[2:3]
	v_mul_f64_e32 v[2:3], v[40:41], v[2:3]
	s_wait_dscnt 0x6
	v_mul_f64_e32 v[94:95], v[46:47], v[6:7]
	v_mul_f64_e32 v[6:7], v[44:45], v[6:7]
	;; [unrolled: 3-line block ×4, first 2 shown]
	s_wait_loadcnt_dscnt 0x102
	v_mul_f64_e32 v[100:101], v[62:63], v[18:19]
	v_mul_f64_e32 v[102:103], v[60:61], v[18:19]
	s_wait_loadcnt 0x0
	v_mul_f64_e32 v[104:105], v[58:59], v[22:23]
	v_mul_f64_e32 v[106:107], v[56:57], v[22:23]
	v_fma_f64 v[24:25], v[24:25], v[0:1], v[69:70]
	v_fma_f64 v[26:27], v[26:27], v[0:1], -v[76:77]
	v_fma_f64 v[28:29], v[28:29], v[4:5], v[78:79]
	v_fma_f64 v[30:31], v[30:31], v[4:5], -v[80:81]
	;; [unrolled: 2-line block ×4, first 2 shown]
	s_wait_dscnt 0x1
	v_mul_f64_e32 v[69:70], v[66:67], v[18:19]
	v_mul_f64_e32 v[18:19], v[64:65], v[18:19]
	s_wait_dscnt 0x0
	v_mul_f64_e32 v[76:77], v[74:75], v[22:23]
	v_mul_f64_e32 v[22:23], v[72:73], v[22:23]
	v_fma_f64 v[40:41], v[40:41], v[0:1], v[92:93]
	v_fma_f64 v[0:1], v[42:43], v[0:1], -v[2:3]
	v_fma_f64 v[2:3], v[44:45], v[4:5], v[94:95]
	v_fma_f64 v[4:5], v[46:47], v[4:5], -v[6:7]
	;; [unrolled: 2-line block ×6, first 2 shown]
	v_add_f64_e32 v[48:49], v[24:25], v[32:33]
	v_add_f64_e32 v[50:51], v[26:27], v[34:35]
	;; [unrolled: 1-line block ×4, first 2 shown]
	v_fma_f64 v[56:57], v[64:65], v[16:17], v[69:70]
	v_fma_f64 v[16:17], v[66:67], v[16:17], -v[18:19]
	v_fma_f64 v[18:19], v[72:73], v[20:21], v[76:77]
	v_fma_f64 v[20:21], v[74:75], v[20:21], -v[22:23]
	v_add_f64_e64 v[28:29], v[28:29], -v[36:37]
	v_add_f64_e64 v[30:31], v[30:31], -v[38:39]
	;; [unrolled: 1-line block ×4, first 2 shown]
	v_add_f64_e32 v[22:23], v[40:41], v[6:7]
	v_add_f64_e32 v[58:59], v[0:1], v[8:9]
	v_add_f64_e32 v[60:61], v[2:3], v[10:11]
	v_add_f64_e32 v[62:63], v[4:5], v[12:13]
	v_add_f64_e64 v[10:11], v[2:3], -v[10:11]
	v_add_f64_e64 v[12:13], v[4:5], -v[12:13]
	v_add_f64_e32 v[64:65], v[14:15], v[44:45]
	v_add_f64_e32 v[66:67], v[42:43], v[46:47]
	v_add_f64_e64 v[14:15], v[44:45], -v[14:15]
	v_add_f64_e64 v[36:37], v[46:47], -v[42:43]
	;; [unrolled: 1-line block ×3, first 2 shown]
	v_add_f64_e32 v[32:33], v[52:53], v[48:49]
	v_add_f64_e32 v[34:35], v[54:55], v[50:51]
	;; [unrolled: 1-line block ×4, first 2 shown]
	v_add_f64_e64 v[18:19], v[18:19], -v[56:57]
	v_add_f64_e64 v[16:17], v[20:21], -v[16:17]
	;; [unrolled: 1-line block ×5, first 2 shown]
	ds_load_b128 v[0:3], v84
	ds_load_b128 v[4:7], v87 offset:272
	v_add_f64_e32 v[40:41], v[60:61], v[22:23]
	v_add_f64_e32 v[44:45], v[62:63], v[58:59]
	global_wb scope:SCOPE_SE
	s_wait_dscnt 0x0
	s_barrier_signal -1
	v_add_f64_e64 v[46:47], v[48:49], -v[64:65]
	v_add_f64_e64 v[56:57], v[50:51], -v[66:67]
	;; [unrolled: 1-line block ×9, first 2 shown]
	v_add_f64_e32 v[28:29], v[14:15], v[28:29]
	v_add_f64_e32 v[30:31], v[36:37], v[30:31]
	v_add_f64_e64 v[14:15], v[24:25], -v[14:15]
	v_add_f64_e64 v[36:37], v[26:27], -v[36:37]
	s_barrier_wait -1
	global_inv scope:SCOPE_SE
	v_add_f64_e32 v[32:33], v[64:65], v[32:33]
	v_add_f64_e32 v[34:35], v[66:67], v[34:35]
	v_add_f64_e64 v[64:65], v[22:23], -v[38:39]
	v_add_f64_e64 v[66:67], v[58:59], -v[42:43]
	;; [unrolled: 1-line block ×5, first 2 shown]
	v_add_f64_e32 v[52:53], v[18:19], v[10:11]
	v_add_f64_e32 v[54:55], v[16:17], v[12:13]
	v_mul_f64_e32 v[96:97], s[10:11], v[78:79]
	v_add_f64_e32 v[40:41], v[38:39], v[40:41]
	v_add_f64_e32 v[44:45], v[42:43], v[44:45]
	v_add_f64_e64 v[38:39], v[38:39], -v[60:61]
	v_add_f64_e64 v[42:43], v[42:43], -v[62:63]
	v_mul_f64_e32 v[46:47], s[0:1], v[46:47]
	v_mul_f64_e32 v[56:57], s[0:1], v[56:57]
	;; [unrolled: 1-line block ×7, first 2 shown]
	v_add_f64_e64 v[22:23], v[60:61], -v[22:23]
	v_add_f64_e64 v[58:59], v[62:63], -v[58:59]
	v_add_f64_e32 v[24:25], v[28:29], v[24:25]
	v_add_f64_e32 v[26:27], v[30:31], v[26:27]
	;; [unrolled: 1-line block ×4, first 2 shown]
	v_add_f64_e64 v[0:1], v[20:21], -v[18:19]
	v_add_f64_e64 v[2:3], v[8:9], -v[16:17]
	v_mul_f64_e32 v[16:17], s[0:1], v[64:65]
	v_mul_f64_e32 v[18:19], s[0:1], v[66:67]
	v_mul_f64_e32 v[64:65], s[6:7], v[82:83]
	v_mul_f64_e32 v[66:67], s[6:7], v[85:86]
	v_mul_f64_e32 v[85:86], s[10:11], v[90:91]
	v_mul_f64_e32 v[82:83], s[10:11], v[88:89]
	s_mov_b32 s0, 0x5476071b
	s_mov_b32 s1, 0x3fe77f67
	v_add_f64_e32 v[4:5], v[4:5], v[40:41]
	v_add_f64_e32 v[6:7], v[6:7], v[44:45]
	v_mul_f64_e32 v[60:61], s[2:3], v[38:39]
	v_mul_f64_e32 v[62:63], s[2:3], v[42:43]
	s_mov_b32 s7, 0xbfe77f67
	s_wait_alu 0xfffe
	s_mov_b32 s6, s0
	v_fma_f64 v[28:29], v[69:70], s[2:3], v[46:47]
	v_fma_f64 v[30:31], v[72:73], s[2:3], v[56:57]
	;; [unrolled: 1-line block ×4, first 2 shown]
	v_fma_f64 v[76:77], v[80:81], s[10:11], -v[76:77]
	v_add_f64_e32 v[20:21], v[52:53], v[20:21]
	v_fma_f64 v[52:53], v[48:49], s[0:1], -v[92:93]
	v_fma_f64 v[74:75], v[78:79], s[10:11], -v[74:75]
	;; [unrolled: 1-line block ×4, first 2 shown]
	s_wait_alu 0xfffe
	v_fma_f64 v[46:47], v[48:49], s[6:7], -v[46:47]
	v_fma_f64 v[48:49], v[50:51], s[6:7], -v[56:57]
	v_add_f64_e32 v[8:9], v[54:55], v[8:9]
	v_fma_f64 v[54:55], v[50:51], s[0:1], -v[94:95]
	v_fma_f64 v[32:33], v[32:33], s[12:13], v[10:11]
	v_fma_f64 v[34:35], v[34:35], s[12:13], v[12:13]
	;; [unrolled: 1-line block ×6, first 2 shown]
	v_fma_f64 v[64:65], v[88:89], s[10:11], -v[64:65]
	v_fma_f64 v[66:67], v[90:91], s[10:11], -v[66:67]
	;; [unrolled: 1-line block ×4, first 2 shown]
	v_fma_f64 v[40:41], v[40:41], s[12:13], v[4:5]
	v_fma_f64 v[44:45], v[44:45], s[12:13], v[6:7]
	v_fma_f64 v[16:17], v[22:23], s[6:7], -v[16:17]
	v_fma_f64 v[18:19], v[58:59], s[6:7], -v[18:19]
	;; [unrolled: 1-line block ×4, first 2 shown]
	s_mov_b32 s0, 0x37c3f68c
	s_mov_b32 s1, 0xbfdc38aa
	s_wait_alu 0xfffe
	v_fma_f64 v[60:61], v[24:25], s[0:1], v[69:70]
	v_fma_f64 v[62:63], v[26:27], s[0:1], v[72:73]
	;; [unrolled: 1-line block ×6, first 2 shown]
	v_add_f64_e32 v[76:77], v[28:29], v[32:33]
	v_add_f64_e32 v[78:79], v[30:31], v[34:35]
	;; [unrolled: 1-line block ×6, first 2 shown]
	v_fma_f64 v[80:81], v[20:21], s[0:1], v[50:51]
	v_fma_f64 v[82:83], v[8:9], s[0:1], v[56:57]
	;; [unrolled: 1-line block ×6, first 2 shown]
	v_add_f64_e32 v[8:9], v[38:39], v[40:41]
	v_add_f64_e32 v[64:65], v[42:43], v[44:45]
	;; [unrolled: 1-line block ×7, first 2 shown]
	v_add_f64_e64 v[16:17], v[78:79], -v[60:61]
	v_add_f64_e32 v[18:19], v[36:37], v[30:31]
	v_add_f64_e64 v[20:21], v[46:47], -v[74:75]
	v_add_f64_e64 v[22:23], v[26:27], -v[72:73]
	v_add_f64_e32 v[24:25], v[69:70], v[28:29]
	v_add_f64_e32 v[26:27], v[72:73], v[26:27]
	v_add_f64_e64 v[28:29], v[28:29], -v[69:70]
	v_add_f64_e64 v[30:31], v[30:31], -v[36:37]
	v_add_f64_e32 v[32:33], v[74:75], v[46:47]
	v_add_f64_e64 v[34:35], v[76:77], -v[62:63]
	v_add_f64_e32 v[36:37], v[60:61], v[78:79]
	v_add_f64_e32 v[38:39], v[82:83], v[8:9]
	v_add_f64_e64 v[40:41], v[64:65], -v[80:81]
	v_add_f64_e32 v[42:43], v[2:3], v[54:55]
	v_add_f64_e64 v[44:45], v[56:57], -v[0:1]
	v_add_f64_e64 v[46:47], v[66:67], -v[50:51]
	v_add_f64_e32 v[48:49], v[52:53], v[58:59]
	v_add_f64_e32 v[50:51], v[50:51], v[66:67]
	v_add_f64_e64 v[52:53], v[58:59], -v[52:53]
	v_add_f64_e64 v[54:55], v[54:55], -v[2:3]
	v_add_f64_e32 v[56:57], v[0:1], v[56:57]
	v_add_f64_e64 v[58:59], v[8:9], -v[82:83]
	v_add_f64_e32 v[60:61], v[80:81], v[64:65]
	v_mov_b32_e32 v69, 0
	ds_store_b128 v87, v[10:13]
	ds_store_b128 v87, v[14:17] offset:272
	ds_store_b128 v87, v[18:21] offset:544
	;; [unrolled: 1-line block ×13, first 2 shown]
	v_lshlrev_b64_e32 v[8:9], 4, v[68:69]
	global_wb scope:SCOPE_SE
	s_wait_dscnt 0x0
	s_barrier_signal -1
	s_barrier_wait -1
	global_inv scope:SCOPE_SE
	v_add_co_u32 v2, s0, s4, v8
	s_wait_alu 0xf1ff
	v_add_co_ci_u32_e64 v3, s0, s5, v9, s0
	s_clause 0x6
	global_load_b128 v[4:7], v[2:3], off offset:1632
	global_load_b128 v[10:13], v[2:3], off offset:1904
	;; [unrolled: 1-line block ×7, first 2 shown]
	ds_load_b128 v[34:37], v87 offset:1904
	ds_load_b128 v[38:41], v87 offset:2176
	;; [unrolled: 1-line block ×8, first 2 shown]
	v_cmp_ne_u32_e64 s0, 0, v68
	s_wait_loadcnt_dscnt 0x607
	v_mul_f64_e32 v[0:1], v[36:37], v[6:7]
	v_mul_f64_e32 v[6:7], v[34:35], v[6:7]
	s_wait_loadcnt_dscnt 0x506
	v_mul_f64_e32 v[66:67], v[40:41], v[12:13]
	v_mul_f64_e32 v[12:13], v[38:39], v[12:13]
	;; [unrolled: 3-line block ×7, first 2 shown]
	v_fma_f64 v[0:1], v[34:35], v[4:5], v[0:1]
	v_fma_f64 v[34:35], v[36:37], v[4:5], -v[6:7]
	v_fma_f64 v[36:37], v[38:39], v[10:11], v[66:67]
	v_fma_f64 v[38:39], v[40:41], v[10:11], -v[12:13]
	;; [unrolled: 2-line block ×7, first 2 shown]
	ds_load_b128 v[4:7], v84
	ds_load_b128 v[10:13], v87 offset:272
	ds_load_b128 v[14:17], v87 offset:544
	;; [unrolled: 1-line block ×5, first 2 shown]
	global_wb scope:SCOPE_SE
	s_wait_dscnt 0x0
	s_barrier_signal -1
	s_barrier_wait -1
	global_inv scope:SCOPE_SE
	v_add_f64_e64 v[30:31], v[4:5], -v[0:1]
	v_add_f64_e64 v[32:33], v[6:7], -v[34:35]
	v_add_f64_e64 v[34:35], v[10:11], -v[36:37]
	v_add_f64_e64 v[36:37], v[12:13], -v[38:39]
	v_add_f64_e64 v[38:39], v[14:15], -v[40:41]
	v_add_f64_e64 v[40:41], v[16:17], -v[42:43]
	v_add_f64_e64 v[42:43], v[18:19], -v[44:45]
	v_add_f64_e64 v[44:45], v[20:21], -v[46:47]
	v_add_f64_e64 v[46:47], v[22:23], -v[48:49]
	v_add_f64_e64 v[48:49], v[24:25], -v[50:51]
	v_add_f64_e64 v[50:51], v[26:27], -v[52:53]
	v_add_f64_e64 v[52:53], v[28:29], -v[54:55]
	v_add_f64_e64 v[54:55], v[62:63], -v[56:57]
	v_add_f64_e64 v[56:57], v[64:65], -v[58:59]
	v_lshl_add_u32 v0, v110, 4, v111
	v_fma_f64 v[4:5], v[4:5], 2.0, -v[30:31]
	v_fma_f64 v[6:7], v[6:7], 2.0, -v[32:33]
	;; [unrolled: 1-line block ×14, first 2 shown]
	ds_store_b128 v0, v[34:37] offset:2176
	ds_store_b128 v0, v[38:41] offset:2448
	ds_store_b128 v0, v[42:45] offset:2720
	ds_store_b128 v0, v[46:49] offset:2992
	ds_store_b128 v0, v[50:53] offset:3264
	ds_store_b128 v0, v[54:57] offset:3536
	ds_store_b128 v87, v[4:7]
	ds_store_b128 v87, v[10:13] offset:272
	ds_store_b128 v87, v[14:17] offset:544
	;; [unrolled: 1-line block ×7, first 2 shown]
	global_wb scope:SCOPE_SE
	s_wait_dscnt 0x0
	s_barrier_signal -1
	s_barrier_wait -1
	global_inv scope:SCOPE_SE
	ds_load_b128 v[4:7], v84
	v_sub_nc_u32_e32 v14, v255, v119
                                        ; implicit-def: $vgpr0_vgpr1
                                        ; implicit-def: $vgpr10_vgpr11
                                        ; implicit-def: $vgpr12_vgpr13
	s_and_saveexec_b32 s1, s0
	s_wait_alu 0xfffe
	s_xor_b32 s0, exec_lo, s1
	s_cbranch_execz .LBB0_14
; %bb.13:
	global_load_b128 v[15:18], v[2:3], off offset:3536
	ds_load_b128 v[0:3], v14 offset:3808
                                        ; implicit-def: $vgpr255
	s_wait_dscnt 0x0
	v_add_f64_e64 v[10:11], v[4:5], -v[0:1]
	v_add_f64_e32 v[12:13], v[6:7], v[2:3]
	v_add_f64_e64 v[2:3], v[6:7], -v[2:3]
	v_add_f64_e32 v[0:1], v[4:5], v[0:1]
	s_delay_alu instid0(VALU_DEP_4) | instskip(NEXT) | instid1(VALU_DEP_4)
	v_mul_f64_e32 v[6:7], 0.5, v[10:11]
	v_mul_f64_e32 v[4:5], 0.5, v[12:13]
	s_delay_alu instid0(VALU_DEP_4) | instskip(SKIP_1) | instid1(VALU_DEP_3)
	v_mul_f64_e32 v[2:3], 0.5, v[2:3]
	s_wait_loadcnt 0x0
	v_mul_f64_e32 v[10:11], v[6:7], v[17:18]
	s_delay_alu instid0(VALU_DEP_2) | instskip(SKIP_1) | instid1(VALU_DEP_3)
	v_fma_f64 v[12:13], v[4:5], v[17:18], v[2:3]
	v_fma_f64 v[2:3], v[4:5], v[17:18], -v[2:3]
	v_fma_f64 v[19:20], v[0:1], 0.5, v[10:11]
	v_fma_f64 v[0:1], v[0:1], 0.5, -v[10:11]
	s_delay_alu instid0(VALU_DEP_4) | instskip(NEXT) | instid1(VALU_DEP_4)
	v_fma_f64 v[12:13], -v[15:16], v[6:7], v[12:13]
	v_fma_f64 v[2:3], -v[15:16], v[6:7], v[2:3]
	s_delay_alu instid0(VALU_DEP_4) | instskip(NEXT) | instid1(VALU_DEP_4)
	v_fma_f64 v[10:11], v[4:5], v[15:16], v[19:20]
	v_fma_f64 v[0:1], -v[4:5], v[15:16], v[0:1]
                                        ; implicit-def: $vgpr4_vgpr5
.LBB0_14:
	s_wait_alu 0xfffe
	s_and_not1_saveexec_b32 s0, s0
	s_cbranch_execz .LBB0_16
; %bb.15:
	s_wait_dscnt 0x0
	v_add_f64_e32 v[10:11], v[4:5], v[6:7]
	v_add_f64_e64 v[0:1], v[4:5], -v[6:7]
	ds_load_b64 v[4:5], v255 offset:1912
	v_mov_b32_e32 v12, 0
	v_mov_b32_e32 v13, 0
	s_delay_alu instid0(VALU_DEP_1)
	v_dual_mov_b32 v2, v12 :: v_dual_mov_b32 v3, v13
	s_wait_dscnt 0x0
	v_xor_b32_e32 v5, 0x80000000, v5
	ds_store_b64 v255, v[4:5] offset:1912
.LBB0_16:
	s_wait_alu 0xfffe
	s_or_b32 exec_lo, exec_lo, s0
	s_add_nc_u64 s[0:1], s[4:5], 0xdd0
	s_wait_alu 0xfffe
	v_add_co_u32 v19, s0, s0, v8
	s_wait_alu 0xf1ff
	v_add_co_ci_u32_e64 v20, s0, s1, v9, s0
	s_wait_dscnt 0x0
	s_clause 0x1
	global_load_b128 v[4:7], v[19:20], off offset:272
	global_load_b128 v[15:18], v[19:20], off offset:544
	ds_store_2addr_b64 v84, v[10:11], v[12:13] offset1:1
	ds_store_b128 v14, v[0:3] offset:3808
	ds_load_b128 v[0:3], v84 offset:272
	ds_load_b128 v[10:13], v14 offset:3536
	s_wait_dscnt 0x0
	v_add_f64_e64 v[21:22], v[0:1], -v[10:11]
	v_add_f64_e32 v[23:24], v[2:3], v[12:13]
	v_add_f64_e64 v[2:3], v[2:3], -v[12:13]
	v_add_f64_e32 v[0:1], v[0:1], v[10:11]
	s_delay_alu instid0(VALU_DEP_4) | instskip(NEXT) | instid1(VALU_DEP_4)
	v_mul_f64_e32 v[12:13], 0.5, v[21:22]
	v_mul_f64_e32 v[21:22], 0.5, v[23:24]
	s_delay_alu instid0(VALU_DEP_4) | instskip(SKIP_1) | instid1(VALU_DEP_3)
	v_mul_f64_e32 v[2:3], 0.5, v[2:3]
	s_wait_loadcnt 0x1
	v_mul_f64_e32 v[10:11], v[12:13], v[6:7]
	s_delay_alu instid0(VALU_DEP_2) | instskip(SKIP_1) | instid1(VALU_DEP_3)
	v_fma_f64 v[23:24], v[21:22], v[6:7], v[2:3]
	v_fma_f64 v[2:3], v[21:22], v[6:7], -v[2:3]
	v_fma_f64 v[6:7], v[0:1], 0.5, v[10:11]
	v_fma_f64 v[0:1], v[0:1], 0.5, -v[10:11]
	s_delay_alu instid0(VALU_DEP_4) | instskip(NEXT) | instid1(VALU_DEP_4)
	v_fma_f64 v[10:11], -v[4:5], v[12:13], v[23:24]
	v_fma_f64 v[2:3], -v[4:5], v[12:13], v[2:3]
	s_delay_alu instid0(VALU_DEP_4) | instskip(NEXT) | instid1(VALU_DEP_4)
	v_fma_f64 v[12:13], v[21:22], v[4:5], v[6:7]
	v_fma_f64 v[0:1], -v[21:22], v[4:5], v[0:1]
	global_load_b128 v[4:7], v[19:20], off offset:816
	ds_store_2addr_b64 v84, v[12:13], v[10:11] offset0:34 offset1:35
	ds_store_b128 v14, v[0:3] offset:3536
	ds_load_b128 v[0:3], v84 offset:544
	ds_load_b128 v[10:13], v14 offset:3264
	s_wait_dscnt 0x0
	v_add_f64_e64 v[21:22], v[0:1], -v[10:11]
	v_add_f64_e32 v[23:24], v[2:3], v[12:13]
	v_add_f64_e64 v[2:3], v[2:3], -v[12:13]
	v_add_f64_e32 v[0:1], v[0:1], v[10:11]
	s_delay_alu instid0(VALU_DEP_4) | instskip(NEXT) | instid1(VALU_DEP_4)
	v_mul_f64_e32 v[12:13], 0.5, v[21:22]
	v_mul_f64_e32 v[21:22], 0.5, v[23:24]
	s_delay_alu instid0(VALU_DEP_4) | instskip(SKIP_1) | instid1(VALU_DEP_3)
	v_mul_f64_e32 v[2:3], 0.5, v[2:3]
	s_wait_loadcnt 0x1
	v_mul_f64_e32 v[10:11], v[12:13], v[17:18]
	s_delay_alu instid0(VALU_DEP_2) | instskip(SKIP_1) | instid1(VALU_DEP_3)
	v_fma_f64 v[23:24], v[21:22], v[17:18], v[2:3]
	v_fma_f64 v[2:3], v[21:22], v[17:18], -v[2:3]
	v_fma_f64 v[17:18], v[0:1], 0.5, v[10:11]
	v_fma_f64 v[0:1], v[0:1], 0.5, -v[10:11]
	s_delay_alu instid0(VALU_DEP_4) | instskip(NEXT) | instid1(VALU_DEP_4)
	v_fma_f64 v[23:24], -v[15:16], v[12:13], v[23:24]
	v_fma_f64 v[2:3], -v[15:16], v[12:13], v[2:3]
	global_load_b128 v[10:13], v[19:20], off offset:1088
	v_fma_f64 v[17:18], v[21:22], v[15:16], v[17:18]
	v_fma_f64 v[0:1], -v[21:22], v[15:16], v[0:1]
	ds_store_2addr_b64 v84, v[17:18], v[23:24] offset0:68 offset1:69
	ds_store_b128 v14, v[0:3] offset:3264
	ds_load_b128 v[0:3], v84 offset:816
	ds_load_b128 v[15:18], v14 offset:2992
	s_wait_dscnt 0x0
	v_add_f64_e64 v[21:22], v[0:1], -v[15:16]
	v_add_f64_e32 v[23:24], v[2:3], v[17:18]
	v_add_f64_e64 v[2:3], v[2:3], -v[17:18]
	v_add_f64_e32 v[0:1], v[0:1], v[15:16]
	s_delay_alu instid0(VALU_DEP_4) | instskip(NEXT) | instid1(VALU_DEP_4)
	v_mul_f64_e32 v[17:18], 0.5, v[21:22]
	v_mul_f64_e32 v[21:22], 0.5, v[23:24]
	s_delay_alu instid0(VALU_DEP_4) | instskip(SKIP_1) | instid1(VALU_DEP_3)
	v_mul_f64_e32 v[2:3], 0.5, v[2:3]
	s_wait_loadcnt 0x1
	v_mul_f64_e32 v[15:16], v[17:18], v[6:7]
	s_delay_alu instid0(VALU_DEP_2) | instskip(SKIP_1) | instid1(VALU_DEP_3)
	v_fma_f64 v[23:24], v[21:22], v[6:7], v[2:3]
	v_fma_f64 v[2:3], v[21:22], v[6:7], -v[2:3]
	v_fma_f64 v[6:7], v[0:1], 0.5, v[15:16]
	v_fma_f64 v[0:1], v[0:1], 0.5, -v[15:16]
	s_delay_alu instid0(VALU_DEP_4) | instskip(NEXT) | instid1(VALU_DEP_4)
	v_fma_f64 v[15:16], -v[4:5], v[17:18], v[23:24]
	v_fma_f64 v[2:3], -v[4:5], v[17:18], v[2:3]
	s_delay_alu instid0(VALU_DEP_4) | instskip(NEXT) | instid1(VALU_DEP_4)
	v_fma_f64 v[17:18], v[21:22], v[4:5], v[6:7]
	v_fma_f64 v[0:1], -v[21:22], v[4:5], v[0:1]
	global_load_b128 v[4:7], v[19:20], off offset:1360
	ds_store_2addr_b64 v84, v[17:18], v[15:16] offset0:102 offset1:103
	ds_store_b128 v14, v[0:3] offset:2992
	ds_load_b128 v[0:3], v84 offset:1088
	ds_load_b128 v[15:18], v14 offset:2720
	s_wait_dscnt 0x0
	v_add_f64_e64 v[21:22], v[0:1], -v[15:16]
	v_add_f64_e32 v[23:24], v[2:3], v[17:18]
	v_add_f64_e64 v[2:3], v[2:3], -v[17:18]
	v_add_f64_e32 v[0:1], v[0:1], v[15:16]
	s_delay_alu instid0(VALU_DEP_4) | instskip(NEXT) | instid1(VALU_DEP_4)
	v_mul_f64_e32 v[17:18], 0.5, v[21:22]
	v_mul_f64_e32 v[21:22], 0.5, v[23:24]
	s_delay_alu instid0(VALU_DEP_4) | instskip(SKIP_1) | instid1(VALU_DEP_3)
	v_mul_f64_e32 v[2:3], 0.5, v[2:3]
	s_wait_loadcnt 0x1
	v_mul_f64_e32 v[15:16], v[17:18], v[12:13]
	s_delay_alu instid0(VALU_DEP_2) | instskip(SKIP_1) | instid1(VALU_DEP_3)
	v_fma_f64 v[23:24], v[21:22], v[12:13], v[2:3]
	v_fma_f64 v[2:3], v[21:22], v[12:13], -v[2:3]
	v_fma_f64 v[12:13], v[0:1], 0.5, v[15:16]
	v_fma_f64 v[0:1], v[0:1], 0.5, -v[15:16]
	s_delay_alu instid0(VALU_DEP_4) | instskip(NEXT) | instid1(VALU_DEP_4)
	v_fma_f64 v[15:16], -v[10:11], v[17:18], v[23:24]
	v_fma_f64 v[2:3], -v[10:11], v[17:18], v[2:3]
	s_delay_alu instid0(VALU_DEP_4) | instskip(NEXT) | instid1(VALU_DEP_4)
	v_fma_f64 v[17:18], v[21:22], v[10:11], v[12:13]
	v_fma_f64 v[0:1], -v[21:22], v[10:11], v[0:1]
	global_load_b128 v[10:13], v[19:20], off offset:1632
	ds_store_2addr_b64 v84, v[17:18], v[15:16] offset0:136 offset1:137
	ds_store_b128 v14, v[0:3] offset:2720
	ds_load_b128 v[0:3], v84 offset:1360
	ds_load_b128 v[15:18], v14 offset:2448
	s_wait_dscnt 0x0
	v_add_f64_e64 v[19:20], v[0:1], -v[15:16]
	v_add_f64_e32 v[21:22], v[2:3], v[17:18]
	v_add_f64_e64 v[2:3], v[2:3], -v[17:18]
	v_add_f64_e32 v[0:1], v[0:1], v[15:16]
	s_delay_alu instid0(VALU_DEP_4) | instskip(NEXT) | instid1(VALU_DEP_4)
	v_mul_f64_e32 v[17:18], 0.5, v[19:20]
	v_mul_f64_e32 v[19:20], 0.5, v[21:22]
	s_delay_alu instid0(VALU_DEP_4) | instskip(SKIP_1) | instid1(VALU_DEP_3)
	v_mul_f64_e32 v[2:3], 0.5, v[2:3]
	s_wait_loadcnt 0x1
	v_mul_f64_e32 v[15:16], v[17:18], v[6:7]
	s_delay_alu instid0(VALU_DEP_2) | instskip(SKIP_1) | instid1(VALU_DEP_3)
	v_fma_f64 v[21:22], v[19:20], v[6:7], v[2:3]
	v_fma_f64 v[2:3], v[19:20], v[6:7], -v[2:3]
	v_fma_f64 v[6:7], v[0:1], 0.5, v[15:16]
	v_fma_f64 v[0:1], v[0:1], 0.5, -v[15:16]
	s_delay_alu instid0(VALU_DEP_4) | instskip(NEXT) | instid1(VALU_DEP_4)
	v_fma_f64 v[15:16], -v[4:5], v[17:18], v[21:22]
	v_fma_f64 v[2:3], -v[4:5], v[17:18], v[2:3]
	s_delay_alu instid0(VALU_DEP_4) | instskip(NEXT) | instid1(VALU_DEP_4)
	v_fma_f64 v[6:7], v[19:20], v[4:5], v[6:7]
	v_fma_f64 v[0:1], -v[19:20], v[4:5], v[0:1]
	ds_store_2addr_b64 v84, v[6:7], v[15:16] offset0:170 offset1:171
	ds_store_b128 v14, v[0:3] offset:2448
	ds_load_b128 v[0:3], v84 offset:1632
	ds_load_b128 v[4:7], v14 offset:2176
	s_wait_dscnt 0x0
	v_add_f64_e64 v[15:16], v[0:1], -v[4:5]
	v_add_f64_e32 v[17:18], v[2:3], v[6:7]
	v_add_f64_e64 v[2:3], v[2:3], -v[6:7]
	v_add_f64_e32 v[0:1], v[0:1], v[4:5]
	s_delay_alu instid0(VALU_DEP_4) | instskip(NEXT) | instid1(VALU_DEP_4)
	v_mul_f64_e32 v[6:7], 0.5, v[15:16]
	v_mul_f64_e32 v[15:16], 0.5, v[17:18]
	s_delay_alu instid0(VALU_DEP_4) | instskip(SKIP_1) | instid1(VALU_DEP_3)
	v_mul_f64_e32 v[2:3], 0.5, v[2:3]
	s_wait_loadcnt 0x0
	v_mul_f64_e32 v[4:5], v[6:7], v[12:13]
	s_delay_alu instid0(VALU_DEP_2) | instskip(SKIP_1) | instid1(VALU_DEP_3)
	v_fma_f64 v[17:18], v[15:16], v[12:13], v[2:3]
	v_fma_f64 v[2:3], v[15:16], v[12:13], -v[2:3]
	v_fma_f64 v[12:13], v[0:1], 0.5, v[4:5]
	v_fma_f64 v[0:1], v[0:1], 0.5, -v[4:5]
	s_delay_alu instid0(VALU_DEP_4) | instskip(NEXT) | instid1(VALU_DEP_4)
	v_fma_f64 v[4:5], -v[10:11], v[6:7], v[17:18]
	v_fma_f64 v[2:3], -v[10:11], v[6:7], v[2:3]
	s_delay_alu instid0(VALU_DEP_4) | instskip(NEXT) | instid1(VALU_DEP_4)
	v_fma_f64 v[6:7], v[15:16], v[10:11], v[12:13]
	v_fma_f64 v[0:1], -v[15:16], v[10:11], v[0:1]
	ds_store_2addr_b64 v84, v[6:7], v[4:5] offset0:204 offset1:205
	ds_store_b128 v14, v[0:3] offset:2176
	global_wb scope:SCOPE_SE
	s_wait_dscnt 0x0
	s_barrier_signal -1
	s_barrier_wait -1
	global_inv scope:SCOPE_SE
	s_and_saveexec_b32 s0, vcc_lo
	s_cbranch_execz .LBB0_19
; %bb.17:
	ds_load_b128 v[2:5], v84
	ds_load_b128 v[10:13], v84 offset:272
	ds_load_b128 v[14:17], v84 offset:544
	;; [unrolled: 1-line block ×13, first 2 shown]
	v_add_co_u32 v0, vcc_lo, s8, v108
	s_wait_alu 0xfffd
	v_add_co_ci_u32_e32 v1, vcc_lo, s9, v109, vcc_lo
	s_delay_alu instid0(VALU_DEP_2) | instskip(SKIP_1) | instid1(VALU_DEP_2)
	v_add_co_u32 v6, vcc_lo, v0, v8
	s_wait_alu 0xfffd
	v_add_co_ci_u32_e32 v7, vcc_lo, v1, v9, vcc_lo
	v_cmp_eq_u32_e32 vcc_lo, 16, v68
	s_wait_dscnt 0xd
	global_store_b128 v[6:7], v[2:5], off
	s_wait_dscnt 0xc
	global_store_b128 v[6:7], v[10:13], off offset:272
	s_wait_dscnt 0xb
	global_store_b128 v[6:7], v[14:17], off offset:544
	;; [unrolled: 2-line block ×13, first 2 shown]
	s_and_b32 exec_lo, exec_lo, vcc_lo
	s_cbranch_execz .LBB0_19
; %bb.18:
	ds_load_b128 v[2:5], v84 offset:3552
	s_wait_dscnt 0x0
	global_store_b128 v[0:1], v[2:5], off offset:3808
.LBB0_19:
	s_nop 0
	s_sendmsg sendmsg(MSG_DEALLOC_VGPRS)
	s_endpgm
	.section	.rodata,"a",@progbits
	.p2align	6, 0x0
	.amdhsa_kernel fft_rtc_back_len238_factors_17_7_2_wgs_51_tpt_17_halfLds_dp_ip_CI_unitstride_sbrr_R2C_dirReg
		.amdhsa_group_segment_fixed_size 0
		.amdhsa_private_segment_fixed_size 100
		.amdhsa_kernarg_size 88
		.amdhsa_user_sgpr_count 2
		.amdhsa_user_sgpr_dispatch_ptr 0
		.amdhsa_user_sgpr_queue_ptr 0
		.amdhsa_user_sgpr_kernarg_segment_ptr 1
		.amdhsa_user_sgpr_dispatch_id 0
		.amdhsa_user_sgpr_private_segment_size 0
		.amdhsa_wavefront_size32 1
		.amdhsa_uses_dynamic_stack 0
		.amdhsa_enable_private_segment 1
		.amdhsa_system_sgpr_workgroup_id_x 1
		.amdhsa_system_sgpr_workgroup_id_y 0
		.amdhsa_system_sgpr_workgroup_id_z 0
		.amdhsa_system_sgpr_workgroup_info 0
		.amdhsa_system_vgpr_workitem_id 0
		.amdhsa_next_free_vgpr 256
		.amdhsa_next_free_sgpr 50
		.amdhsa_reserve_vcc 1
		.amdhsa_float_round_mode_32 0
		.amdhsa_float_round_mode_16_64 0
		.amdhsa_float_denorm_mode_32 3
		.amdhsa_float_denorm_mode_16_64 3
		.amdhsa_fp16_overflow 0
		.amdhsa_workgroup_processor_mode 1
		.amdhsa_memory_ordered 1
		.amdhsa_forward_progress 0
		.amdhsa_round_robin_scheduling 0
		.amdhsa_exception_fp_ieee_invalid_op 0
		.amdhsa_exception_fp_denorm_src 0
		.amdhsa_exception_fp_ieee_div_zero 0
		.amdhsa_exception_fp_ieee_overflow 0
		.amdhsa_exception_fp_ieee_underflow 0
		.amdhsa_exception_fp_ieee_inexact 0
		.amdhsa_exception_int_div_zero 0
	.end_amdhsa_kernel
	.text
.Lfunc_end0:
	.size	fft_rtc_back_len238_factors_17_7_2_wgs_51_tpt_17_halfLds_dp_ip_CI_unitstride_sbrr_R2C_dirReg, .Lfunc_end0-fft_rtc_back_len238_factors_17_7_2_wgs_51_tpt_17_halfLds_dp_ip_CI_unitstride_sbrr_R2C_dirReg
                                        ; -- End function
	.section	.AMDGPU.csdata,"",@progbits
; Kernel info:
; codeLenInByte = 11792
; NumSgprs: 52
; NumVgprs: 256
; ScratchSize: 100
; MemoryBound: 0
; FloatMode: 240
; IeeeMode: 1
; LDSByteSize: 0 bytes/workgroup (compile time only)
; SGPRBlocks: 6
; VGPRBlocks: 31
; NumSGPRsForWavesPerEU: 52
; NumVGPRsForWavesPerEU: 256
; Occupancy: 5
; WaveLimiterHint : 1
; COMPUTE_PGM_RSRC2:SCRATCH_EN: 1
; COMPUTE_PGM_RSRC2:USER_SGPR: 2
; COMPUTE_PGM_RSRC2:TRAP_HANDLER: 0
; COMPUTE_PGM_RSRC2:TGID_X_EN: 1
; COMPUTE_PGM_RSRC2:TGID_Y_EN: 0
; COMPUTE_PGM_RSRC2:TGID_Z_EN: 0
; COMPUTE_PGM_RSRC2:TIDIG_COMP_CNT: 0
	.text
	.p2alignl 7, 3214868480
	.fill 96, 4, 3214868480
	.type	__hip_cuid_e1df638ff1d1bc44,@object ; @__hip_cuid_e1df638ff1d1bc44
	.section	.bss,"aw",@nobits
	.globl	__hip_cuid_e1df638ff1d1bc44
__hip_cuid_e1df638ff1d1bc44:
	.byte	0                               ; 0x0
	.size	__hip_cuid_e1df638ff1d1bc44, 1

	.ident	"AMD clang version 19.0.0git (https://github.com/RadeonOpenCompute/llvm-project roc-6.4.0 25133 c7fe45cf4b819c5991fe208aaa96edf142730f1d)"
	.section	".note.GNU-stack","",@progbits
	.addrsig
	.addrsig_sym __hip_cuid_e1df638ff1d1bc44
	.amdgpu_metadata
---
amdhsa.kernels:
  - .args:
      - .actual_access:  read_only
        .address_space:  global
        .offset:         0
        .size:           8
        .value_kind:     global_buffer
      - .offset:         8
        .size:           8
        .value_kind:     by_value
      - .actual_access:  read_only
        .address_space:  global
        .offset:         16
        .size:           8
        .value_kind:     global_buffer
      - .actual_access:  read_only
        .address_space:  global
        .offset:         24
        .size:           8
        .value_kind:     global_buffer
      - .offset:         32
        .size:           8
        .value_kind:     by_value
      - .actual_access:  read_only
        .address_space:  global
        .offset:         40
        .size:           8
        .value_kind:     global_buffer
      - .actual_access:  read_only
        .address_space:  global
        .offset:         48
        .size:           8
        .value_kind:     global_buffer
      - .offset:         56
        .size:           4
        .value_kind:     by_value
      - .actual_access:  read_only
        .address_space:  global
        .offset:         64
        .size:           8
        .value_kind:     global_buffer
      - .actual_access:  read_only
        .address_space:  global
        .offset:         72
        .size:           8
        .value_kind:     global_buffer
      - .address_space:  global
        .offset:         80
        .size:           8
        .value_kind:     global_buffer
    .group_segment_fixed_size: 0
    .kernarg_segment_align: 8
    .kernarg_segment_size: 88
    .language:       OpenCL C
    .language_version:
      - 2
      - 0
    .max_flat_workgroup_size: 51
    .name:           fft_rtc_back_len238_factors_17_7_2_wgs_51_tpt_17_halfLds_dp_ip_CI_unitstride_sbrr_R2C_dirReg
    .private_segment_fixed_size: 100
    .sgpr_count:     52
    .sgpr_spill_count: 0
    .symbol:         fft_rtc_back_len238_factors_17_7_2_wgs_51_tpt_17_halfLds_dp_ip_CI_unitstride_sbrr_R2C_dirReg.kd
    .uniform_work_group_size: 1
    .uses_dynamic_stack: false
    .vgpr_count:     256
    .vgpr_spill_count: 24
    .wavefront_size: 32
    .workgroup_processor_mode: 1
amdhsa.target:   amdgcn-amd-amdhsa--gfx1201
amdhsa.version:
  - 1
  - 2
...

	.end_amdgpu_metadata
